;; amdgpu-corpus repo=ROCm/rocFFT kind=compiled arch=gfx1030 opt=O3
	.text
	.amdgcn_target "amdgcn-amd-amdhsa--gfx1030"
	.amdhsa_code_object_version 6
	.protected	bluestein_single_fwd_len352_dim1_dp_op_CI_CI ; -- Begin function bluestein_single_fwd_len352_dim1_dp_op_CI_CI
	.globl	bluestein_single_fwd_len352_dim1_dp_op_CI_CI
	.p2align	8
	.type	bluestein_single_fwd_len352_dim1_dp_op_CI_CI,@function
bluestein_single_fwd_len352_dim1_dp_op_CI_CI: ; @bluestein_single_fwd_len352_dim1_dp_op_CI_CI
; %bb.0:
	s_load_dwordx4 s[8:11], s[4:5], 0x28
	v_lshrrev_b32_e32 v1, 5, v0
	v_mov_b32_e32 v150, 0
	s_mov_b32 s0, exec_lo
	v_lshl_or_b32 v193, s6, 1, v1
	v_mov_b32_e32 v194, v150
	s_waitcnt lgkmcnt(0)
	v_cmpx_gt_u64_e64 s[8:9], v[193:194]
	s_cbranch_execz .LBB0_18
; %bb.1:
	s_clause 0x1
	s_load_dwordx4 s[0:3], s[4:5], 0x18
	s_load_dwordx4 s[12:15], s[4:5], 0x0
	v_and_b32_e32 v210, 31, v0
	v_and_b32_e32 v0, 32, v0
	s_mov_b32 s30, 0xf8bb580b
	s_mov_b32 s20, 0xbb3a28a1
	;; [unrolled: 1-line block ×3, first 2 shown]
	v_or_b32_e32 v3, 0xc0, v210
	v_or_b32_e32 v6, 0xe0, v210
	;; [unrolled: 1-line block ×5, first 2 shown]
	v_lshlrev_b32_e32 v223, 4, v3
	v_lshlrev_b32_e32 v222, 4, v6
	;; [unrolled: 1-line block ×3, first 2 shown]
	v_or_b32_e32 v7, 0x100, v210
	v_or_b32_e32 v8, 0x120, v210
	v_lshlrev_b32_e32 v220, 4, v69
	v_lshlrev_b32_e32 v192, 4, v11
	;; [unrolled: 1-line block ×3, first 2 shown]
	s_waitcnt lgkmcnt(0)
	s_load_dwordx4 s[16:19], s[0:1], 0x0
	v_lshlrev_b32_e32 v209, 4, v7
	v_lshlrev_b32_e32 v221, 4, v8
	s_clause 0x3
	global_load_dwordx4 v[25:28], v208, s[12:13]
	global_load_dwordx4 v[33:36], v208, s[12:13] offset:512
	global_load_dwordx4 v[29:32], v208, s[12:13] offset:1024
	;; [unrolled: 1-line block ×3, first 2 shown]
	s_mov_b32 s31, 0xbfe14ced
	s_mov_b32 s7, 0xbfed1bb4
	;; [unrolled: 1-line block ×14, first 2 shown]
	s_waitcnt lgkmcnt(0)
	v_mad_u64_u32 v[9:10], null, s16, v210, 0
	v_mad_u64_u32 v[1:2], null, s18, v193, 0
	s_lshl_b64 s[0:1], s[16:17], 9
	v_mov_b32_e32 v3, v10
	v_mad_u64_u32 v[4:5], null, s19, v193, v[2:3]
	s_mov_b32 s18, 0x43842ef
	s_mov_b32 s19, 0xbfefac9e
	;; [unrolled: 1-line block ×3, first 2 shown]
	v_mad_u64_u32 v[5:6], null, s17, v210, v[3:4]
	v_mov_b32_e32 v2, v4
	s_mov_b32 s16, 0x640f44db
	s_mov_b32 s17, 0xbfc2375f
	v_lshlrev_b64 v[11:12], 4, v[1:2]
	v_mov_b32_e32 v10, v5
	s_clause 0x2
	global_load_dwordx4 v[21:24], v220, s[12:13]
	global_load_dwordx4 v[5:8], v13, s[12:13]
	;; [unrolled: 1-line block ×3, first 2 shown]
	v_add_co_u32 v15, vcc_lo, s10, v11
	v_lshlrev_b64 v[13:14], 4, v[9:10]
	v_add_co_ci_u32_e32 v16, vcc_lo, s11, v12, vcc_lo
	global_load_dwordx4 v[9:12], v222, s[12:13]
	v_add_co_u32 v37, vcc_lo, v15, v13
	v_add_co_ci_u32_e32 v38, vcc_lo, v16, v14, vcc_lo
	global_load_dwordx4 v[13:16], v209, s[12:13]
	v_add_co_u32 v39, vcc_lo, v37, s0
	v_add_co_ci_u32_e32 v40, vcc_lo, s1, v38, vcc_lo
	global_load_dwordx4 v[45:48], v[37:38], off
	v_add_co_u32 v41, vcc_lo, v39, s0
	global_load_dwordx4 v[49:52], v[39:40], off
	v_add_co_ci_u32_e32 v42, vcc_lo, s1, v40, vcc_lo
	v_add_co_u32 v37, vcc_lo, v41, s0
	v_add_co_ci_u32_e32 v38, vcc_lo, s1, v42, vcc_lo
	v_add_co_u32 v39, vcc_lo, v37, s0
	global_load_dwordx4 v[53:56], v[41:42], off
	v_add_co_ci_u32_e32 v40, vcc_lo, s1, v38, vcc_lo
	v_add_co_u32 v41, vcc_lo, v39, s0
	s_clause 0x1
	global_load_dwordx4 v[57:60], v[37:38], off
	global_load_dwordx4 v[61:64], v[39:40], off
	v_add_co_ci_u32_e32 v42, vcc_lo, s1, v40, vcc_lo
	v_add_co_u32 v37, vcc_lo, v41, s0
	v_add_co_ci_u32_e32 v38, vcc_lo, s1, v42, vcc_lo
	v_add_co_u32 v39, vcc_lo, v37, s0
	global_load_dwordx4 v[65:68], v[41:42], off
	v_add_co_ci_u32_e32 v40, vcc_lo, s1, v38, vcc_lo
	v_add_co_u32 v41, vcc_lo, v39, s0
	global_load_dwordx4 v[70:73], v[37:38], off
	;; [unrolled: 3-line block ×3, first 2 shown]
	v_add_co_ci_u32_e32 v44, vcc_lo, s1, v42, vcc_lo
	v_add_co_u32 v86, vcc_lo, v43, s0
	v_add_co_ci_u32_e32 v87, vcc_lo, s1, v44, vcc_lo
	global_load_dwordx4 v[78:81], v[41:42], off
	global_load_dwordx4 v[37:40], v221, s[12:13]
	global_load_dwordx4 v[82:85], v[43:44], off
	global_load_dwordx4 v[41:44], v192, s[12:13]
	global_load_dwordx4 v[86:89], v[86:87], off
	v_cmp_ne_u32_e32 vcc_lo, 0, v0
	s_load_dwordx4 s[8:11], s[2:3], 0x0
	s_mov_b32 s0, 0x8764f0ba
	s_mov_b32 s2, 0xd9c712b6
	;; [unrolled: 1-line block ×3, first 2 shown]
	v_cndmask_b32_e64 v224, 0, 0x160, vcc_lo
	s_mov_b32 s3, 0x3fda9628
	v_cmp_gt_u64_e32 vcc_lo, 0xb0, v[149:150]
	v_or_b32_e32 v0, v224, v210
	v_lshlrev_b32_e32 v211, 4, v0
	v_lshl_or_b32 v0, v224, 4, v208
	s_waitcnt vmcnt(12)
	v_mul_f64 v[90:91], v[47:48], v[27:28]
	v_mul_f64 v[92:93], v[45:46], v[27:28]
	s_waitcnt vmcnt(11)
	v_mul_f64 v[94:95], v[51:52], v[35:36]
	v_mul_f64 v[96:97], v[49:50], v[35:36]
	s_waitcnt vmcnt(10)
	v_mul_f64 v[98:99], v[55:56], v[31:32]
	v_mul_f64 v[100:101], v[53:54], v[31:32]
	s_waitcnt vmcnt(9)
	v_mul_f64 v[102:103], v[59:60], v[19:20]
	v_mul_f64 v[104:105], v[57:58], v[19:20]
	s_waitcnt vmcnt(8)
	v_mul_f64 v[106:107], v[63:64], v[23:24]
	v_mul_f64 v[108:109], v[61:62], v[23:24]
	v_fma_f64 v[45:46], v[45:46], v[25:26], v[90:91]
	v_fma_f64 v[47:48], v[47:48], v[25:26], -v[92:93]
	v_fma_f64 v[49:50], v[49:50], v[33:34], v[94:95]
	v_fma_f64 v[51:52], v[51:52], v[33:34], -v[96:97]
	s_waitcnt vmcnt(7)
	v_mul_f64 v[110:111], v[67:68], v[7:8]
	v_mul_f64 v[112:113], v[65:66], v[7:8]
	s_waitcnt vmcnt(6)
	v_mul_f64 v[114:115], v[72:73], v[3:4]
	v_mul_f64 v[116:117], v[70:71], v[3:4]
	v_fma_f64 v[53:54], v[53:54], v[29:30], v[98:99]
	v_fma_f64 v[55:56], v[55:56], v[29:30], -v[100:101]
	s_waitcnt vmcnt(5)
	v_mul_f64 v[118:119], v[76:77], v[11:12]
	v_mul_f64 v[120:121], v[74:75], v[11:12]
	v_fma_f64 v[57:58], v[57:58], v[17:18], v[102:103]
	v_fma_f64 v[59:60], v[59:60], v[17:18], -v[104:105]
	s_waitcnt vmcnt(4)
	v_mul_f64 v[122:123], v[80:81], v[15:16]
	v_mul_f64 v[124:125], v[78:79], v[15:16]
	s_waitcnt vmcnt(2)
	v_mul_f64 v[126:127], v[84:85], v[39:40]
	v_mul_f64 v[128:129], v[82:83], v[39:40]
	;; [unrolled: 3-line block ×3, first 2 shown]
	v_fma_f64 v[61:62], v[61:62], v[21:22], v[106:107]
	v_fma_f64 v[63:64], v[63:64], v[21:22], -v[108:109]
	v_fma_f64 v[65:66], v[65:66], v[5:6], v[110:111]
	v_fma_f64 v[67:68], v[67:68], v[5:6], -v[112:113]
	;; [unrolled: 2-line block ×7, first 2 shown]
	ds_write_b128 v211, v[45:48]
	ds_write_b128 v0, v[49:52] offset:512
	ds_write_b128 v0, v[53:56] offset:1024
	;; [unrolled: 1-line block ×10, first 2 shown]
	s_waitcnt lgkmcnt(0)
	s_barrier
	buffer_gl0_inv
	ds_read_b128 v[53:56], v211
	ds_read_b128 v[61:64], v0 offset:512
	ds_read_b128 v[65:68], v0 offset:1024
	;; [unrolled: 1-line block ×4, first 2 shown]
	s_waitcnt lgkmcnt(3)
	v_add_f64 v[45:46], v[53:54], v[61:62]
	v_add_f64 v[47:48], v[55:56], v[63:64]
	s_waitcnt lgkmcnt(2)
	v_add_f64 v[70:71], v[45:46], v[65:66]
	v_add_f64 v[72:73], v[47:48], v[67:68]
	ds_read_b128 v[45:48], v0 offset:5120
	s_waitcnt lgkmcnt(0)
	v_add_f64 v[94:95], v[63:64], -v[47:48]
	v_add_f64 v[90:91], v[70:71], v[57:58]
	v_add_f64 v[92:93], v[72:73], v[59:60]
	ds_read_b128 v[70:73], v0 offset:2048
	ds_read_b128 v[74:77], v0 offset:4096
	;; [unrolled: 1-line block ×5, first 2 shown]
	v_add_f64 v[96:97], v[61:62], -v[45:46]
	v_add_f64 v[98:99], v[61:62], v[45:46]
	v_add_f64 v[100:101], v[63:64], v[47:48]
	;; [unrolled: 1-line block ×4, first 2 shown]
	v_add_f64 v[106:107], v[65:66], -v[49:50]
	v_add_f64 v[108:109], v[67:68], -v[51:52]
	s_waitcnt lgkmcnt(0)
	s_barrier
	buffer_gl0_inv
	v_mul_f64 v[118:119], v[94:95], s[30:31]
	v_add_f64 v[90:91], v[90:91], v[70:71]
	v_add_f64 v[92:93], v[92:93], v[72:73]
	;; [unrolled: 1-line block ×4, first 2 shown]
	v_add_f64 v[63:64], v[82:83], -v[86:87]
	v_add_f64 v[67:68], v[84:85], -v[88:89]
	v_mul_f64 v[120:121], v[96:97], s[30:31]
	v_mul_f64 v[122:123], v[94:95], s[6:7]
	;; [unrolled: 1-line block ×6, first 2 shown]
	v_add_f64 v[112:113], v[70:71], v[78:79]
	v_add_f64 v[114:115], v[72:73], v[80:81]
	v_add_f64 v[70:71], v[70:71], -v[78:79]
	v_add_f64 v[72:73], v[72:73], -v[80:81]
	v_add_f64 v[116:117], v[59:60], v[76:77]
	v_add_f64 v[59:60], v[59:60], -v[76:77]
	v_mul_f64 v[132:133], v[108:109], s[20:21]
	v_mul_f64 v[134:135], v[108:109], s[36:37]
	;; [unrolled: 1-line block ×4, first 2 shown]
	v_add_f64 v[82:83], v[90:91], v[82:83]
	v_add_f64 v[84:85], v[92:93], v[84:85]
	v_mul_f64 v[90:91], v[96:97], s[20:21]
	v_mul_f64 v[92:93], v[94:95], s[24:25]
	;; [unrolled: 1-line block ×9, first 2 shown]
	v_fma_f64 v[151:152], v[98:99], s[0:1], -v[118:119]
	v_fma_f64 v[153:154], v[100:101], s[0:1], v[120:121]
	v_fma_f64 v[118:119], v[98:99], s[0:1], v[118:119]
	v_fma_f64 v[120:121], v[100:101], s[0:1], -v[120:121]
	v_fma_f64 v[155:156], v[98:99], s[2:3], -v[122:123]
	v_fma_f64 v[157:158], v[100:101], s[2:3], v[124:125]
	v_fma_f64 v[159:160], v[98:99], s[22:23], -v[130:131]
	v_fma_f64 v[130:131], v[98:99], s[22:23], v[130:131]
	s_mov_b32 s7, 0x3fed1bb4
	v_add_f64 v[110:111], v[57:58], v[74:75]
	v_add_f64 v[57:58], v[57:58], -v[74:75]
	v_add_f64 v[82:83], v[82:83], v[86:87]
	v_add_f64 v[84:85], v[84:85], v[88:89]
	v_fma_f64 v[86:87], v[98:99], s[2:3], v[122:123]
	v_fma_f64 v[88:89], v[100:101], s[2:3], -v[124:125]
	v_fma_f64 v[122:123], v[98:99], s[16:17], -v[126:127]
	v_fma_f64 v[124:125], v[100:101], s[16:17], v[128:129]
	v_fma_f64 v[126:127], v[98:99], s[16:17], v[126:127]
	v_fma_f64 v[128:129], v[100:101], s[16:17], -v[128:129]
	v_fma_f64 v[161:162], v[100:101], s[22:23], v[90:91]
	v_fma_f64 v[90:91], v[100:101], s[22:23], -v[90:91]
	v_fma_f64 v[163:164], v[98:99], s[26:27], -v[92:93]
	v_fma_f64 v[92:93], v[98:99], s[26:27], v[92:93]
	v_fma_f64 v[98:99], v[100:101], s[26:27], v[94:95]
	v_fma_f64 v[94:95], v[100:101], s[26:27], -v[94:95]
	v_mul_f64 v[146:147], v[59:60], s[18:19]
	v_fma_f64 v[100:101], v[102:103], s[2:3], -v[96:97]
	v_fma_f64 v[96:97], v[102:103], s[2:3], v[96:97]
	v_fma_f64 v[165:166], v[102:103], s[22:23], -v[132:133]
	v_fma_f64 v[132:133], v[102:103], s[22:23], v[132:133]
	;; [unrolled: 2-line block ×3, first 2 shown]
	v_add_f64 v[151:152], v[53:54], v[151:152]
	v_add_f64 v[78:79], v[82:83], v[78:79]
	;; [unrolled: 1-line block ×3, first 2 shown]
	v_fma_f64 v[82:83], v[102:103], s[16:17], -v[136:137]
	v_fma_f64 v[84:85], v[102:103], s[16:17], v[136:137]
	v_fma_f64 v[136:137], v[102:103], s[0:1], -v[108:109]
	v_fma_f64 v[102:103], v[102:103], s[0:1], v[108:109]
	v_fma_f64 v[108:109], v[104:105], s[2:3], v[138:139]
	v_fma_f64 v[138:139], v[104:105], s[2:3], -v[138:139]
	v_add_f64 v[153:154], v[55:56], v[153:154]
	v_add_f64 v[118:119], v[53:54], v[118:119]
	;; [unrolled: 1-line block ×19, first 2 shown]
	v_fma_f64 v[169:170], v[104:105], s[22:23], v[140:141]
	v_fma_f64 v[140:141], v[104:105], s[22:23], -v[140:141]
	v_fma_f64 v[171:172], v[104:105], s[26:27], v[142:143]
	v_fma_f64 v[142:143], v[104:105], s[26:27], -v[142:143]
	v_add_f64 v[53:54], v[78:79], v[74:75]
	v_add_f64 v[55:56], v[80:81], v[76:77]
	v_fma_f64 v[74:75], v[104:105], s[16:17], v[144:145]
	v_fma_f64 v[76:77], v[104:105], s[16:17], -v[144:145]
	v_fma_f64 v[78:79], v[104:105], s[0:1], v[106:107]
	v_fma_f64 v[80:81], v[104:105], s[0:1], -v[106:107]
	v_mul_f64 v[104:105], v[59:60], s[36:37]
	v_mul_f64 v[106:107], v[59:60], s[30:31]
	;; [unrolled: 1-line block ×4, first 2 shown]
	v_fma_f64 v[173:174], v[110:111], s[16:17], -v[146:147]
	v_fma_f64 v[146:147], v[110:111], s[16:17], v[146:147]
	v_mul_f64 v[183:184], v[57:58], s[36:37]
	v_mul_f64 v[185:186], v[57:58], s[30:31]
	;; [unrolled: 1-line block ×9, first 2 shown]
	v_add_f64 v[100:101], v[100:101], v[151:152]
	v_add_f64 v[108:109], v[108:109], v[153:154]
	;; [unrolled: 1-line block ×7, first 2 shown]
	v_fma_f64 v[175:176], v[110:111], s[26:27], -v[104:105]
	v_fma_f64 v[104:105], v[110:111], s[26:27], v[104:105]
	v_fma_f64 v[177:178], v[110:111], s[0:1], -v[106:107]
	v_fma_f64 v[106:107], v[110:111], s[0:1], v[106:107]
	;; [unrolled: 2-line block ×4, first 2 shown]
	v_mul_f64 v[110:111], v[57:58], s[18:19]
	v_mul_f64 v[57:58], v[57:58], s[6:7]
	v_fma_f64 v[194:195], v[116:117], s[26:27], v[183:184]
	v_fma_f64 v[183:184], v[116:117], s[26:27], -v[183:184]
	v_fma_f64 v[196:197], v[116:117], s[0:1], v[185:186]
	v_fma_f64 v[185:186], v[116:117], s[0:1], -v[185:186]
	;; [unrolled: 2-line block ×3, first 2 shown]
	v_fma_f64 v[214:215], v[112:113], s[16:17], -v[202:203]
	v_fma_f64 v[202:203], v[112:113], s[16:17], v[202:203]
	v_fma_f64 v[216:217], v[112:113], s[0:1], -v[204:205]
	v_fma_f64 v[204:205], v[112:113], s[0:1], v[204:205]
	;; [unrolled: 2-line block ×3, first 2 shown]
	v_fma_f64 v[235:236], v[114:115], s[16:17], v[227:228]
	v_fma_f64 v[227:228], v[114:115], s[16:17], -v[227:228]
	v_fma_f64 v[237:238], v[114:115], s[0:1], v[229:230]
	v_fma_f64 v[229:230], v[114:115], s[0:1], -v[229:230]
	;; [unrolled: 2-line block ×3, first 2 shown]
	v_add_f64 v[78:79], v[78:79], v[98:99]
	v_add_f64 v[92:93], v[102:103], v[92:93]
	v_fma_f64 v[189:190], v[116:117], s[16:17], v[110:111]
	v_fma_f64 v[110:111], v[116:117], s[16:17], -v[110:111]
	v_fma_f64 v[200:201], v[116:117], s[2:3], v[57:58]
	v_fma_f64 v[57:58], v[116:117], s[2:3], -v[57:58]
	v_mul_f64 v[116:117], v[72:73], s[20:21]
	v_mul_f64 v[72:73], v[72:73], s[6:7]
	v_add_f64 v[80:81], v[80:81], v[94:95]
	v_mul_f64 v[94:95], v[67:68], s[24:25]
	v_mul_f64 v[98:99], v[67:68], s[28:29]
	;; [unrolled: 1-line block ×5, first 2 shown]
	v_add_f64 v[124:125], v[171:172], v[124:125]
	v_add_f64 v[82:83], v[82:83], v[159:160]
	;; [unrolled: 1-line block ×11, first 2 shown]
	v_mul_f64 v[106:107], v[63:64], s[24:25]
	v_mul_f64 v[122:123], v[63:64], s[18:19]
	v_add_f64 v[96:97], v[146:147], v[96:97]
	v_fma_f64 v[212:213], v[112:113], s[22:23], -v[116:117]
	v_fma_f64 v[116:117], v[112:113], s[22:23], v[116:117]
	v_fma_f64 v[225:226], v[112:113], s[2:3], -v[72:73]
	v_fma_f64 v[72:73], v[112:113], s[2:3], v[72:73]
	v_mul_f64 v[112:113], v[70:71], s[20:21]
	v_mul_f64 v[70:71], v[70:71], s[6:7]
	v_fma_f64 v[132:133], v[65:66], s[26:27], -v[94:95]
	v_fma_f64 v[94:95], v[65:66], s[26:27], v[94:95]
	v_fma_f64 v[134:135], v[65:66], s[0:1], -v[98:99]
	v_fma_f64 v[98:99], v[65:66], s[0:1], v[98:99]
	;; [unrolled: 2-line block ×4, first 2 shown]
	v_add_f64 v[67:68], v[189:190], v[108:109]
	v_add_f64 v[108:109], v[175:176], v[118:119]
	v_mul_f64 v[118:119], v[63:64], s[28:29]
	v_add_f64 v[82:83], v[177:178], v[82:83]
	v_add_f64 v[74:75], v[196:197], v[74:75]
	;; [unrolled: 1-line block ×9, first 2 shown]
	v_fma_f64 v[233:234], v[114:115], s[22:23], v[112:113]
	v_fma_f64 v[112:113], v[114:115], s[22:23], -v[112:113]
	v_fma_f64 v[241:242], v[114:115], s[2:3], v[70:71]
	v_fma_f64 v[70:71], v[114:115], s[2:3], -v[70:71]
	v_add_f64 v[114:115], v[138:139], v[120:121]
	v_add_f64 v[120:121], v[169:170], v[157:158]
	v_fma_f64 v[138:139], v[65:66], s[16:17], -v[130:131]
	v_fma_f64 v[130:131], v[65:66], s[16:17], v[130:131]
	v_add_f64 v[65:66], v[173:174], v[100:101]
	v_add_f64 v[88:89], v[183:184], v[88:89]
	v_fma_f64 v[144:145], v[61:62], s[16:17], v[122:123]
	v_fma_f64 v[122:123], v[61:62], s[16:17], -v[122:123]
	v_fma_f64 v[126:127], v[61:62], s[0:1], v[118:119]
	v_fma_f64 v[118:119], v[61:62], s[0:1], -v[118:119]
	v_add_f64 v[104:105], v[216:217], v[104:105]
	v_add_f64 v[82:83], v[218:219], v[82:83]
	;; [unrolled: 1-line block ×13, first 2 shown]
	v_mul_f64 v[120:121], v[63:64], s[20:21]
	v_mul_f64 v[63:64], v[63:64], s[6:7]
	v_add_f64 v[114:115], v[200:201], v[124:125]
	v_fma_f64 v[124:125], v[61:62], s[26:27], v[106:107]
	v_fma_f64 v[106:107], v[61:62], s[26:27], -v[106:107]
	v_add_f64 v[153:154], v[227:228], v[88:89]
	v_add_f64 v[45:46], v[155:156], v[45:46]
	;; [unrolled: 1-line block ×4, first 2 shown]
	v_fma_f64 v[128:129], v[61:62], s[22:23], v[120:121]
	v_fma_f64 v[120:121], v[61:62], s[22:23], -v[120:121]
	v_fma_f64 v[146:147], v[61:62], s[2:3], v[63:64]
	v_fma_f64 v[63:64], v[61:62], s[2:3], -v[63:64]
	v_add_f64 v[61:62], v[212:213], v[65:66]
	v_add_f64 v[65:66], v[233:234], v[67:68]
	;; [unrolled: 1-line block ×13, first 2 shown]
	v_mul_u32_u24_e32 v90, 11, v210
	s_load_dwordx2 s[2:3], s[4:5], 0x38
	v_add_lshl_u32 v212, v224, v90, 4
	v_add_f64 v[80:81], v[63:64], v[92:93]
	v_add_f64 v[53:54], v[132:133], v[61:62]
	v_add_f64 v[55:56], v[124:125], v[65:66]
	v_add_f64 v[49:50], v[94:95], v[67:68]
	v_add_f64 v[65:66], v[136:137], v[104:105]
	v_add_f64 v[57:58], v[134:135], v[100:101]
	v_add_f64 v[59:60], v[126:127], v[108:109]
	v_add_f64 v[67:68], v[128:129], v[110:111]
	v_add_f64 v[76:77], v[146:147], v[114:115]
	v_add_f64 v[84:85], v[144:145], v[116:117]
	v_add_f64 v[61:62], v[98:99], v[86:87]
	v_add_f64 v[86:87], v[130:131], v[72:73]
	v_add_f64 v[70:71], v[102:103], v[112:113]
	v_add_f64 v[72:73], v[120:121], v[151:152]
	v_add_f64 v[63:64], v[118:119], v[153:154]
	v_add_f64 v[51:52], v[106:107], v[96:97]
	ds_write_b128 v212, v[53:56] offset:16
	ds_write_b128 v212, v[57:60] offset:32
	;; [unrolled: 1-line block ×10, first 2 shown]
	ds_write_b128 v212, v[45:48]
	s_waitcnt lgkmcnt(0)
	s_barrier
	buffer_gl0_inv
	ds_read_b128 v[45:48], v211
	ds_read_b128 v[53:56], v0 offset:512
	ds_read_b128 v[89:92], v0 offset:3328
	;; [unrolled: 1-line block ×9, first 2 shown]
                                        ; implicit-def: $vgpr113_vgpr114
	s_and_saveexec_b32 s0, vcc_lo
	s_cbranch_execz .LBB0_3
; %bb.2:
	ds_read_b128 v[49:52], v0 offset:2560
	ds_read_b128 v[113:116], v0 offset:5376
.LBB0_3:
	s_or_b32 exec_lo, exec_lo, s0
	v_mul_lo_u16 v61, 0x75, v69
	v_mul_lo_u16 v62, 0x75, v149
	;; [unrolled: 1-line block ×3, first 2 shown]
	v_or_b32_e32 v65, 32, v210
	v_or_b32_e32 v66, 64, v210
	v_lshrrev_b16 v61, 8, v61
	v_lshrrev_b16 v62, 8, v62
	;; [unrolled: 1-line block ×3, first 2 shown]
	v_mul_lo_u16 v63, v65, 47
	v_or_b32_e32 v67, 0x60, v210
	v_sub_nc_u16 v68, v69, v61
	v_sub_nc_u16 v70, v149, v62
	v_mul_lo_u16 v71, 0xbb, v66
	v_lshrrev_b16 v142, 9, v63
	v_mul_lo_u16 v72, 0xbb, v67
	v_lshrrev_b16 v68, 1, v68
	v_lshrrev_b16 v70, 1, v70
	v_mul_lo_u16 v73, v141, 11
	v_lshrrev_b16 v143, 11, v71
	v_lshrrev_b16 v144, 11, v72
	v_and_b32_e32 v63, 0x7f, v68
	v_and_b32_e32 v68, 0x7f, v70
	v_mov_b32_e32 v64, 4
	v_sub_nc_u16 v145, v210, v73
	v_mul_lo_u16 v70, v144, 11
	v_add_nc_u16 v61, v63, v61
	v_add_nc_u16 v62, v68, v62
	v_mul_lo_u16 v63, v142, 11
	v_mul_lo_u16 v68, v143, 11
	v_sub_nc_u16 v150, v67, v70
	v_lshrrev_b16 v146, 3, v61
	v_lshrrev_b16 v213, 3, v62
	v_sub_nc_u16 v147, v65, v63
	v_lshlrev_b32_sdwa v61, v64, v145 dst_sel:DWORD dst_unused:UNUSED_PAD src0_sel:DWORD src1_sel:BYTE_0
	v_sub_nc_u16 v148, v66, v68
	v_mul_lo_u16 v62, v146, 11
	v_mul_lo_u16 v63, v213, 11
	v_lshlrev_b32_sdwa v65, v64, v147 dst_sel:DWORD dst_unused:UNUSED_PAD src0_sel:DWORD src1_sel:BYTE_0
	v_lshlrev_b32_sdwa v66, v64, v148 dst_sel:DWORD dst_unused:UNUSED_PAD src0_sel:DWORD src1_sel:BYTE_0
	v_sub_nc_u16 v151, v69, v62
	v_sub_nc_u16 v214, v149, v63
	s_clause 0x1
	global_load_dwordx4 v[69:72], v61, s[14:15]
	global_load_dwordx4 v[73:76], v65, s[14:15]
	v_lshlrev_b32_sdwa v61, v64, v150 dst_sel:DWORD dst_unused:UNUSED_PAD src0_sel:DWORD src1_sel:BYTE_0
	v_lshlrev_b32_sdwa v62, v64, v151 dst_sel:DWORD dst_unused:UNUSED_PAD src0_sel:DWORD src1_sel:BYTE_0
	;; [unrolled: 1-line block ×3, first 2 shown]
	s_clause 0x3
	global_load_dwordx4 v[77:80], v66, s[14:15]
	global_load_dwordx4 v[81:84], v61, s[14:15]
	;; [unrolled: 1-line block ×4, first 2 shown]
	s_waitcnt vmcnt(0) lgkmcnt(0)
	s_barrier
	buffer_gl0_inv
	v_mul_f64 v[117:118], v[111:112], v[71:72]
	v_mul_f64 v[119:120], v[109:110], v[71:72]
	;; [unrolled: 1-line block ×12, first 2 shown]
	v_fma_f64 v[109:110], v[109:110], v[69:70], -v[117:118]
	v_fma_f64 v[111:112], v[111:112], v[69:70], v[119:120]
	v_fma_f64 v[89:90], v[89:90], v[73:74], -v[121:122]
	v_fma_f64 v[91:92], v[91:92], v[73:74], v[123:124]
	v_mov_b32_e32 v121, 22
	v_fma_f64 v[97:98], v[97:98], v[77:78], -v[125:126]
	v_fma_f64 v[99:100], v[99:100], v[77:78], v[127:128]
	v_fma_f64 v[105:106], v[105:106], v[81:82], -v[129:130]
	v_fma_f64 v[107:108], v[107:108], v[81:82], v[131:132]
	;; [unrolled: 2-line block ×4, first 2 shown]
	v_mad_u16 v123, v142, 22, v147
	v_add_f64 v[101:102], v[45:46], -v[109:110]
	v_add_f64 v[103:104], v[47:48], -v[111:112]
	;; [unrolled: 1-line block ×4, first 2 shown]
	v_mad_u16 v109, v141, 22, v145
	v_add_f64 v[89:90], v[85:86], -v[97:98]
	v_add_f64 v[91:92], v[87:88], -v[99:100]
	;; [unrolled: 1-line block ×8, first 2 shown]
	v_mul_u32_u24_sdwa v110, v143, v121 dst_sel:DWORD dst_unused:UNUSED_PAD src0_sel:WORD_0 src1_sel:DWORD
	v_mul_u32_u24_sdwa v111, v144, v121 dst_sel:DWORD dst_unused:UNUSED_PAD src0_sel:WORD_0 src1_sel:DWORD
	v_and_b32_e32 v122, 0xff, v109
	v_add_nc_u32_sdwa v124, v110, v148 dst_sel:DWORD dst_unused:UNUSED_PAD src0_sel:DWORD src1_sel:BYTE_0
	v_add_nc_u32_sdwa v129, v111, v150 dst_sel:DWORD dst_unused:UNUSED_PAD src0_sel:DWORD src1_sel:BYTE_0
	v_add_lshl_u32 v219, v224, v122, 4
	v_fma_f64 v[133:134], v[45:46], 2.0, -v[101:102]
	v_fma_f64 v[135:136], v[47:48], 2.0, -v[103:104]
	;; [unrolled: 1-line block ×4, first 2 shown]
	v_mul_u32_u24_sdwa v45, v146, v121 dst_sel:DWORD dst_unused:UNUSED_PAD src0_sel:WORD_0 src1_sel:DWORD
	v_fma_f64 v[85:86], v[85:86], 2.0, -v[89:90]
	v_fma_f64 v[87:88], v[87:88], 2.0, -v[91:92]
	;; [unrolled: 1-line block ×8, first 2 shown]
	v_and_b32_e32 v46, 0xff, v123
	v_add_nc_u32_sdwa v45, v45, v151 dst_sel:DWORD dst_unused:UNUSED_PAD src0_sel:DWORD src1_sel:BYTE_0
	v_add_lshl_u32 v217, v224, v124, 4
	v_add_lshl_u32 v216, v224, v129, 4
	;; [unrolled: 1-line block ×4, first 2 shown]
	ds_write_b128 v219, v[101:104] offset:176
	ds_write_b128 v219, v[133:136]
	ds_write_b128 v218, v[125:128] offset:176
	ds_write_b128 v218, v[53:56]
	ds_write_b128 v217, v[85:88]
	ds_write_b128 v217, v[89:92] offset:176
	ds_write_b128 v216, v[113:116]
	ds_write_b128 v216, v[97:100] offset:176
	;; [unrolled: 2-line block ×3, first 2 shown]
	s_and_saveexec_b32 s0, vcc_lo
	s_cbranch_execz .LBB0_5
; %bb.4:
	v_mul_u32_u24_sdwa v45, v213, v121 dst_sel:DWORD dst_unused:UNUSED_PAD src0_sel:WORD_0 src1_sel:DWORD
	v_add_nc_u32_sdwa v45, v45, v214 dst_sel:DWORD dst_unused:UNUSED_PAD src0_sel:DWORD src1_sel:BYTE_0
	v_add_lshl_u32 v45, v224, v45, 4
	ds_write_b128 v45, v[109:112]
	ds_write_b128 v45, v[117:120] offset:176
.LBB0_5:
	s_or_b32 exec_lo, exec_lo, s0
	v_cmp_gt_u32_e64 s0, 22, v210
	s_waitcnt lgkmcnt(0)
	s_barrier
	buffer_gl0_inv
                                        ; implicit-def: $vgpr129_vgpr130
                                        ; implicit-def: $vgpr137_vgpr138
                                        ; implicit-def: $vgpr121_vgpr122
                                        ; implicit-def: $vgpr145_vgpr146
	s_and_saveexec_b32 s1, s0
	s_cbranch_execz .LBB0_7
; %bb.6:
	ds_read_b128 v[133:136], v211
	ds_read_b128 v[101:104], v0 offset:352
	ds_read_b128 v[53:56], v0 offset:704
	;; [unrolled: 1-line block ×15, first 2 shown]
.LBB0_7:
	s_or_b32 exec_lo, exec_lo, s1
	v_subrev_nc_u32_e32 v45, 22, v210
	s_mov_b32 s4, 0x667f3bcd
	s_mov_b32 s5, 0xbfe6a09e
	;; [unrolled: 1-line block ×4, first 2 shown]
	v_cndmask_b32_e64 v45, v45, v210, s0
	s_mov_b32 s16, 0xcf328d46
	s_mov_b32 s17, 0xbfed906b
	;; [unrolled: 1-line block ×4, first 2 shown]
	v_mul_i32_i24_e32 v46, 0xf0, v45
	v_mul_hi_i32_i24_e32 v45, 0xf0, v45
	s_mov_b32 s19, 0x3fd87de2
	v_add_co_u32 v178, s1, s14, v46
	v_add_co_ci_u32_e64 v179, s1, s15, v45, s1
	s_mov_b32 s14, 0xa6aea964
	s_mov_b32 s15, 0xbfd87de2
	;; [unrolled: 1-line block ×3, first 2 shown]
	s_clause 0x1
	global_load_dwordx4 v[45:48], v[178:179], off offset:176
	global_load_dwordx4 v[57:60], v[178:179], off offset:192
	s_waitcnt vmcnt(1) lgkmcnt(14)
	v_mul_f64 v[49:50], v[103:104], v[47:48]
	v_fma_f64 v[150:151], v[101:102], v[45:46], -v[49:50]
	v_mul_f64 v[49:50], v[101:102], v[47:48]
	v_fma_f64 v[152:153], v[103:104], v[45:46], v[49:50]
	s_waitcnt vmcnt(0) lgkmcnt(13)
	v_mul_f64 v[49:50], v[55:56], v[59:60]
	v_fma_f64 v[160:161], v[53:54], v[57:58], -v[49:50]
	v_mul_f64 v[49:50], v[53:54], v[59:60]
	v_fma_f64 v[154:155], v[55:56], v[57:58], v[49:50]
	s_clause 0x1
	global_load_dwordx4 v[53:56], v[178:179], off offset:208
	global_load_dwordx4 v[49:52], v[178:179], off offset:224
	s_waitcnt vmcnt(1) lgkmcnt(12)
	v_mul_f64 v[93:94], v[127:128], v[55:56]
	v_fma_f64 v[156:157], v[125:126], v[53:54], -v[93:94]
	v_mul_f64 v[93:94], v[125:126], v[55:56]
	v_fma_f64 v[158:159], v[127:128], v[53:54], v[93:94]
	s_waitcnt vmcnt(0) lgkmcnt(11)
	v_mul_f64 v[93:94], v[87:88], v[51:52]
	v_fma_f64 v[162:163], v[85:86], v[49:50], -v[93:94]
	v_mul_f64 v[85:86], v[85:86], v[51:52]
	v_fma_f64 v[164:165], v[87:88], v[49:50], v[85:86]
	;; [unrolled: 13-line block ×3, first 2 shown]
	s_clause 0x1
	global_load_dwordx4 v[93:96], v[178:179], off offset:272
	global_load_dwordx4 v[89:92], v[178:179], off offset:288
	s_waitcnt vmcnt(1) lgkmcnt(8)
	v_mul_f64 v[113:114], v[99:100], v[95:96]
	v_fma_f64 v[174:175], v[97:98], v[93:94], -v[113:114]
	v_mul_f64 v[97:98], v[97:98], v[95:96]
	v_fma_f64 v[176:177], v[99:100], v[93:94], v[97:98]
	s_waitcnt vmcnt(0) lgkmcnt(7)
	v_mul_f64 v[97:98], v[143:144], v[91:92]
	v_fma_f64 v[180:181], v[141:142], v[89:90], -v[97:98]
	v_mul_f64 v[97:98], v[141:142], v[91:92]
	v_add_f64 v[200:201], v[133:134], -v[180:181]
	v_fma_f64 v[141:142], v[143:144], v[89:90], v[97:98]
	s_clause 0x1
	global_load_dwordx4 v[97:100], v[178:179], off offset:304
	global_load_dwordx4 v[113:116], v[178:179], off offset:320
	v_fma_f64 v[133:134], v[133:134], 2.0, -v[200:201]
	v_add_f64 v[141:142], v[135:136], -v[141:142]
	v_fma_f64 v[135:136], v[135:136], 2.0, -v[141:142]
	s_waitcnt vmcnt(1) lgkmcnt(6)
	v_mul_f64 v[125:126], v[107:108], v[99:100]
	v_fma_f64 v[143:144], v[105:106], v[97:98], -v[125:126]
	v_mul_f64 v[105:106], v[105:106], v[99:100]
	v_add_f64 v[143:144], v[150:151], -v[143:144]
	v_fma_f64 v[182:183], v[107:108], v[97:98], v[105:106]
	s_waitcnt vmcnt(0) lgkmcnt(5)
	v_mul_f64 v[105:106], v[111:112], v[115:116]
	v_add_f64 v[206:207], v[152:153], -v[182:183]
	v_fma_f64 v[184:185], v[109:110], v[113:114], -v[105:106]
	v_mul_f64 v[105:106], v[109:110], v[115:116]
	v_add_f64 v[204:205], v[160:161], -v[184:185]
	v_fma_f64 v[186:187], v[111:112], v[113:114], v[105:106]
	s_clause 0x1
	global_load_dwordx4 v[109:112], v[178:179], off offset:336
	global_load_dwordx4 v[105:108], v[178:179], off offset:352
	v_add_f64 v[186:187], v[154:155], -v[186:187]
	s_waitcnt vmcnt(1) lgkmcnt(4)
	v_mul_f64 v[125:126], v[119:120], v[111:112]
	v_fma_f64 v[188:189], v[117:118], v[109:110], -v[125:126]
	v_mul_f64 v[117:118], v[117:118], v[111:112]
	v_add_f64 v[188:189], v[156:157], -v[188:189]
	v_fma_f64 v[190:191], v[119:120], v[109:110], v[117:118]
	s_waitcnt vmcnt(0) lgkmcnt(3)
	v_mul_f64 v[117:118], v[147:148], v[107:108]
	v_add_f64 v[190:191], v[158:159], -v[190:191]
	v_fma_f64 v[194:195], v[145:146], v[105:106], -v[117:118]
	v_mul_f64 v[117:118], v[145:146], v[107:108]
	v_fma_f64 v[158:159], v[158:159], 2.0, -v[190:191]
	v_add_f64 v[194:195], v[162:163], -v[194:195]
	v_fma_f64 v[145:146], v[147:148], v[105:106], v[117:118]
	s_clause 0x1
	global_load_dwordx4 v[117:120], v[178:179], off offset:368
	global_load_dwordx4 v[125:128], v[178:179], off offset:384
	v_add_f64 v[235:236], v[141:142], v[194:195]
	v_add_f64 v[202:203], v[164:165], -v[145:146]
	v_fma_f64 v[194:195], v[162:163], 2.0, -v[194:195]
	v_add_f64 v[229:230], v[200:201], -v[202:203]
	v_fma_f64 v[202:203], v[164:165], 2.0, -v[202:203]
	v_fma_f64 v[162:163], v[200:201], 2.0, -v[229:230]
	s_waitcnt vmcnt(1) lgkmcnt(2)
	v_mul_f64 v[147:148], v[123:124], v[119:120]
	v_fma_f64 v[147:148], v[121:122], v[117:118], -v[147:148]
	v_mul_f64 v[121:122], v[121:122], v[119:120]
	v_add_f64 v[225:226], v[166:167], -v[147:148]
	v_fma_f64 v[196:197], v[123:124], v[117:118], v[121:122]
	s_waitcnt vmcnt(0) lgkmcnt(1)
	v_mul_f64 v[121:122], v[139:140], v[127:128]
	v_add_f64 v[243:244], v[206:207], v[225:226]
	v_add_f64 v[196:197], v[168:169], -v[196:197]
	v_fma_f64 v[198:199], v[137:138], v[125:126], -v[121:122]
	v_mul_f64 v[121:122], v[137:138], v[127:128]
	v_add_f64 v[237:238], v[143:144], -v[196:197]
	v_add_f64 v[198:199], v[170:171], -v[198:199]
	v_fma_f64 v[137:138], v[139:140], v[125:126], v[121:122]
	global_load_dwordx4 v[121:124], v[178:179], off offset:400
	v_fma_f64 v[168:169], v[168:169], 2.0, -v[196:197]
	v_fma_f64 v[196:197], v[152:153], 2.0, -v[206:207]
	;; [unrolled: 1-line block ×3, first 2 shown]
	v_add_f64 v[233:234], v[186:187], v[198:199]
	v_add_f64 v[137:138], v[172:173], -v[137:138]
	v_fma_f64 v[170:171], v[170:171], 2.0, -v[198:199]
	v_fma_f64 v[198:199], v[166:167], 2.0, -v[225:226]
	;; [unrolled: 1-line block ×3, first 2 shown]
	v_add_f64 v[231:232], v[204:205], -v[137:138]
	v_fma_f64 v[137:138], v[172:173], 2.0, -v[137:138]
	v_fma_f64 v[200:201], v[204:205], 2.0, -v[231:232]
	;; [unrolled: 1-line block ×8, first 2 shown]
	v_fma_f64 v[150:151], v[200:201], s[4:5], v[162:163]
	v_add_f64 v[137:138], v[141:142], -v[137:138]
	v_fma_f64 v[152:153], v[154:155], s[4:5], v[160:161]
	v_add_f64 v[198:199], v[186:187], -v[198:199]
	v_fma_f64 v[150:151], v[154:155], s[4:5], v[150:151]
	v_fma_f64 v[152:153], v[200:201], s[6:7], v[152:153]
	v_add_f64 v[200:201], v[135:136], -v[202:203]
	v_add_f64 v[202:203], v[196:197], -v[168:169]
	v_fma_f64 v[186:187], v[186:187], 2.0, -v[198:199]
	s_waitcnt vmcnt(0) lgkmcnt(0)
	v_mul_f64 v[139:140], v[131:132], v[123:124]
	v_fma_f64 v[139:140], v[129:130], v[121:122], -v[139:140]
	v_mul_f64 v[129:130], v[129:130], v[123:124]
	v_add_f64 v[139:140], v[174:175], -v[139:140]
	v_fma_f64 v[129:130], v[131:132], v[121:122], v[129:130]
	v_add_f64 v[241:242], v[190:191], v[139:140]
	v_add_f64 v[227:228], v[176:177], -v[129:130]
	v_fma_f64 v[129:130], v[231:232], s[6:7], v[229:230]
	v_fma_f64 v[139:140], v[174:175], 2.0, -v[139:140]
	v_add_f64 v[239:240], v[188:189], -v[227:228]
	v_fma_f64 v[178:179], v[233:234], s[4:5], v[129:130]
	v_fma_f64 v[129:130], v[233:234], s[6:7], v[235:236]
	v_fma_f64 v[174:175], v[176:177], 2.0, -v[227:228]
	v_fma_f64 v[176:177], v[190:191], 2.0, -v[241:242]
	v_add_f64 v[139:140], v[143:144], -v[139:140]
	v_fma_f64 v[190:191], v[135:136], 2.0, -v[200:201]
	v_fma_f64 v[156:157], v[188:189], 2.0, -v[239:240]
	;; [unrolled: 1-line block ×3, first 2 shown]
	v_fma_f64 v[180:181], v[231:232], s[6:7], v[129:130]
	v_fma_f64 v[129:130], v[239:240], s[6:7], v[237:238]
	v_add_f64 v[174:175], v[158:159], -v[174:175]
	v_add_f64 v[206:207], v[202:203], v[139:140]
	v_fma_f64 v[188:189], v[141:142], 2.0, -v[137:138]
	v_fma_f64 v[225:226], v[143:144], 2.0, -v[139:140]
	v_fma_f64 v[154:155], v[156:157], s[4:5], v[164:165]
	v_fma_f64 v[184:185], v[235:236], 2.0, -v[180:181]
	v_fma_f64 v[145:146], v[241:242], s[4:5], v[129:130]
	v_fma_f64 v[129:130], v[241:242], s[6:7], v[243:244]
	v_fma_f64 v[227:228], v[158:159], 2.0, -v[174:175]
	v_fma_f64 v[172:173], v[176:177], s[4:5], v[154:155]
	;; [unrolled: 3-line block ×3, first 2 shown]
	v_fma_f64 v[129:130], v[145:146], s[20:21], v[178:179]
	v_fma_f64 v[176:177], v[156:157], s[6:7], v[154:155]
	v_add_f64 v[156:157], v[204:205], -v[170:171]
	v_add_f64 v[170:171], v[133:134], -v[194:195]
	v_fma_f64 v[131:132], v[147:148], s[20:21], v[180:181]
	v_fma_f64 v[194:195], v[196:197], 2.0, -v[202:203]
	v_fma_f64 v[129:130], v[147:148], s[14:15], v[129:130]
	v_fma_f64 v[168:169], v[204:205], 2.0, -v[156:157]
	v_add_f64 v[154:155], v[170:171], -v[137:138]
	v_add_f64 v[156:157], v[200:201], v[156:157]
	v_add_f64 v[204:205], v[198:199], -v[174:175]
	v_fma_f64 v[131:132], v[145:146], s[18:19], v[131:132]
	v_fma_f64 v[145:146], v[243:244], 2.0, -v[147:148]
	v_fma_f64 v[174:175], v[133:134], 2.0, -v[170:171]
	v_fma_f64 v[147:148], v[245:246], s[14:15], v[182:183]
	v_add_f64 v[196:197], v[194:195], -v[227:228]
	v_fma_f64 v[139:140], v[206:207], s[6:7], v[156:157]
	v_fma_f64 v[137:138], v[204:205], s[6:7], v[154:155]
	;; [unrolled: 1-line block ×3, first 2 shown]
	v_add_f64 v[158:159], v[174:175], -v[168:169]
	v_add_f64 v[168:169], v[190:191], -v[188:189]
	;; [unrolled: 1-line block ×3, first 2 shown]
	v_fma_f64 v[145:146], v[145:146], s[16:17], v[147:148]
	v_fma_f64 v[143:144], v[204:205], s[6:7], v[139:140]
	;; [unrolled: 1-line block ×6, first 2 shown]
	v_add_f64 v[133:134], v[158:159], -v[196:197]
	v_add_f64 v[135:136], v[168:169], v[188:189]
	v_fma_f64 v[137:138], v[176:177], s[16:17], v[137:138]
	v_fma_f64 v[139:140], v[172:173], s[20:21], v[139:140]
	s_and_saveexec_b32 s1, s0
	s_cbranch_execz .LBB0_9
; %bb.8:
	v_fma_f64 v[200:201], v[200:201], 2.0, -v[156:157]
	v_fma_f64 v[202:203], v[202:203], 2.0, -v[206:207]
	;; [unrolled: 1-line block ×18, first 2 shown]
	v_fma_f64 v[170:171], v[202:203], s[4:5], v[200:201]
	v_fma_f64 v[172:173], v[176:177], s[16:17], v[204:205]
	;; [unrolled: 1-line block ×4, first 2 shown]
	v_add_f64 v[162:163], v[227:228], -v[160:161]
	v_add_f64 v[160:161], v[174:175], -v[166:167]
	v_fma_f64 v[166:167], v[198:199], s[6:7], v[170:171]
	v_fma_f64 v[172:173], v[164:165], s[18:19], v[172:173]
	;; [unrolled: 1-line block ×4, first 2 shown]
	v_fma_f64 v[188:189], v[182:183], 2.0, -v[145:146]
	v_fma_f64 v[196:197], v[227:228], 2.0, -v[162:163]
	;; [unrolled: 1-line block ×10, first 2 shown]
	ds_write_b128 v211, v[194:197]
	ds_write_b128 v0, v[188:191] offset:1056
	ds_write_b128 v0, v[184:187] offset:1408
	;; [unrolled: 1-line block ×15, first 2 shown]
.LBB0_9:
	s_or_b32 exec_lo, exec_lo, s1
	s_add_u32 s4, s12, 0x1600
	s_addc_u32 s5, s13, 0
	s_waitcnt lgkmcnt(0)
	s_barrier
	buffer_gl0_inv
	global_load_dwordx4 v[154:157], v208, s[4:5]
	ds_read_b128 v[150:153], v211
	v_lshlrev_b32_e32 v149, 4, v149
	v_lshlrev_b32_e32 v224, 4, v224
	s_mov_b32 s24, 0xf8bb580b
	s_mov_b32 s18, 0x8eee2c13
	;; [unrolled: 1-line block ×24, first 2 shown]
	s_waitcnt vmcnt(0) lgkmcnt(0)
	v_mul_f64 v[158:159], v[152:153], v[156:157]
	v_fma_f64 v[158:159], v[150:151], v[154:155], -v[158:159]
	v_mul_f64 v[150:151], v[150:151], v[156:157]
	v_fma_f64 v[160:161], v[152:153], v[154:155], v[150:151]
	global_load_dwordx4 v[154:157], v208, s[4:5] offset:512
	ds_write_b128 v211, v[158:161]
	ds_read_b128 v[150:153], v0 offset:512
	s_waitcnt vmcnt(0) lgkmcnt(0)
	v_mul_f64 v[158:159], v[152:153], v[156:157]
	v_fma_f64 v[158:159], v[150:151], v[154:155], -v[158:159]
	v_mul_f64 v[150:151], v[150:151], v[156:157]
	v_fma_f64 v[160:161], v[152:153], v[154:155], v[150:151]
	global_load_dwordx4 v[154:157], v208, s[4:5] offset:1024
	ds_read_b128 v[150:153], v0 offset:1024
	ds_write_b128 v0, v[158:161] offset:512
	s_waitcnt vmcnt(0) lgkmcnt(1)
	v_mul_f64 v[158:159], v[152:153], v[156:157]
	v_fma_f64 v[158:159], v[150:151], v[154:155], -v[158:159]
	v_mul_f64 v[150:151], v[150:151], v[156:157]
	v_fma_f64 v[160:161], v[152:153], v[154:155], v[150:151]
	global_load_dwordx4 v[154:157], v208, s[4:5] offset:1536
	ds_read_b128 v[150:153], v0 offset:1536
	ds_write_b128 v0, v[158:161] offset:1024
	s_waitcnt vmcnt(0) lgkmcnt(1)
	v_mul_f64 v[158:159], v[152:153], v[156:157]
	v_fma_f64 v[158:159], v[150:151], v[154:155], -v[158:159]
	v_mul_f64 v[150:151], v[150:151], v[156:157]
	v_fma_f64 v[160:161], v[152:153], v[154:155], v[150:151]
	global_load_dwordx4 v[154:157], v220, s[4:5]
	ds_read_b128 v[150:153], v0 offset:2048
	v_add_nc_u32_e32 v220, v224, v208
	ds_write_b128 v0, v[158:161] offset:1536
	s_waitcnt vmcnt(0) lgkmcnt(1)
	v_mul_f64 v[158:159], v[152:153], v[156:157]
	v_fma_f64 v[158:159], v[150:151], v[154:155], -v[158:159]
	v_mul_f64 v[150:151], v[150:151], v[156:157]
	v_fma_f64 v[160:161], v[152:153], v[154:155], v[150:151]
	global_load_dwordx4 v[154:157], v149, s[4:5]
	ds_read_b128 v[150:153], v220 offset:2560
	ds_write_b128 v0, v[158:161] offset:2048
	s_waitcnt vmcnt(0) lgkmcnt(1)
	v_mul_f64 v[158:159], v[152:153], v[156:157]
	v_fma_f64 v[158:159], v[150:151], v[154:155], -v[158:159]
	v_mul_f64 v[149:150], v[150:151], v[156:157]
	v_fma_f64 v[160:161], v[152:153], v[154:155], v[149:150]
	global_load_dwordx4 v[153:156], v223, s[4:5]
	ds_read_b128 v[149:152], v0 offset:3072
	;; [unrolled: 8-line block ×6, first 2 shown]
	s_mov_b32 s4, 0x43842ef
	s_mov_b32 s5, 0xbfefac9e
	;; [unrolled: 1-line block ×3, first 2 shown]
	ds_write_b128 v0, v[157:160] offset:4608
	s_waitcnt vmcnt(0) lgkmcnt(1)
	v_mul_f64 v[157:158], v[151:152], v[155:156]
	v_fma_f64 v[157:158], v[149:150], v[153:154], -v[157:158]
	v_mul_f64 v[149:150], v[149:150], v[155:156]
	v_fma_f64 v[159:160], v[151:152], v[153:154], v[149:150]
	ds_write_b128 v0, v[157:160] offset:5120
	s_waitcnt lgkmcnt(0)
	s_barrier
	buffer_gl0_inv
	ds_read_b128 v[161:164], v211
	ds_read_b128 v[165:168], v0 offset:512
	ds_read_b128 v[169:172], v0 offset:1024
	;; [unrolled: 1-line block ×10, first 2 shown]
	s_waitcnt lgkmcnt(0)
	s_barrier
	buffer_gl0_inv
	v_add_f64 v[149:150], v[161:162], v[165:166]
	v_add_f64 v[151:152], v[163:164], v[167:168]
	;; [unrolled: 1-line block ×3, first 2 shown]
	v_add_f64 v[167:168], v[167:168], -v[196:197]
	v_add_f64 v[198:199], v[165:166], v[194:195]
	v_add_f64 v[165:166], v[165:166], -v[194:195]
	v_add_f64 v[149:150], v[149:150], v[169:170]
	v_add_f64 v[151:152], v[151:152], v[171:172]
	v_mul_f64 v[202:203], v[200:201], s[26:27]
	v_mul_f64 v[206:207], v[167:168], s[18:19]
	;; [unrolled: 1-line block ×8, first 2 shown]
	v_add_f64 v[149:150], v[149:150], v[173:174]
	v_add_f64 v[151:152], v[151:152], v[175:176]
	v_fma_f64 v[204:205], v[165:166], s[28:29], v[202:203]
	v_fma_f64 v[208:209], v[198:199], s[14:15], v[206:207]
	v_fma_f64 v[206:207], v[198:199], s[14:15], -v[206:207]
	v_fma_f64 v[229:230], v[198:199], s[6:7], v[227:228]
	v_fma_f64 v[227:228], v[198:199], s[6:7], -v[227:228]
	;; [unrolled: 2-line block ×3, first 2 shown]
	v_fma_f64 v[202:203], v[165:166], s[24:25], v[202:203]
	v_fma_f64 v[225:226], v[165:166], s[16:17], v[221:222]
	;; [unrolled: 1-line block ×6, first 2 shown]
	v_add_f64 v[149:150], v[149:150], v[177:178]
	v_add_f64 v[151:152], v[151:152], v[179:180]
	v_fma_f64 v[239:240], v[165:166], s[20:21], v[239:240]
	v_fma_f64 v[245:246], v[165:166], s[38:39], v[200:201]
	;; [unrolled: 1-line block ×3, first 2 shown]
	v_add_f64 v[204:205], v[163:164], v[204:205]
	v_add_f64 v[208:209], v[161:162], v[208:209]
	;; [unrolled: 1-line block ×19, first 2 shown]
	v_add_f64 v[169:170], v[169:170], -v[189:190]
	v_add_f64 v[149:150], v[149:150], v[157:158]
	v_add_f64 v[151:152], v[151:152], v[159:160]
	;; [unrolled: 1-line block ×9, first 2 shown]
	v_mul_f64 v[194:195], v[167:168], s[24:25]
	v_mul_f64 v[167:168], v[167:168], s[34:35]
	v_add_f64 v[151:152], v[151:152], v[196:197]
	v_fma_f64 v[196:197], v[198:199], s[26:27], v[194:195]
	v_fma_f64 v[194:195], v[198:199], s[26:27], -v[194:195]
	v_fma_f64 v[243:244], v[198:199], s[36:37], v[167:168]
	v_fma_f64 v[167:168], v[198:199], s[36:37], -v[167:168]
	v_add_f64 v[196:197], v[161:162], v[196:197]
	v_add_f64 v[194:195], v[161:162], v[194:195]
	;; [unrolled: 1-line block ×5, first 2 shown]
	v_add_f64 v[171:172], v[171:172], -v[191:192]
	v_mul_f64 v[189:190], v[171:172], s[18:19]
	v_fma_f64 v[191:192], v[165:166], s[14:15], v[189:190]
	v_fma_f64 v[189:190], v[165:166], s[14:15], -v[189:190]
	v_add_f64 v[191:192], v[191:192], v[196:197]
	v_mul_f64 v[196:197], v[167:168], s[14:15]
	v_add_f64 v[189:190], v[189:190], v[194:195]
	v_fma_f64 v[198:199], v[169:170], s[16:17], v[196:197]
	v_fma_f64 v[194:195], v[169:170], s[18:19], v[196:197]
	v_mul_f64 v[196:197], v[171:172], s[20:21]
	v_add_f64 v[198:199], v[198:199], v[204:205]
	v_add_f64 v[194:195], v[194:195], v[202:203]
	v_fma_f64 v[200:201], v[165:166], s[22:23], v[196:197]
	v_fma_f64 v[196:197], v[165:166], s[22:23], -v[196:197]
	v_mul_f64 v[202:203], v[167:168], s[22:23]
	v_add_f64 v[200:201], v[200:201], v[208:209]
	v_add_f64 v[196:197], v[196:197], v[206:207]
	v_mul_f64 v[206:207], v[171:172], s[38:39]
	v_fma_f64 v[204:205], v[169:170], s[30:31], v[202:203]
	v_fma_f64 v[202:203], v[169:170], s[20:21], v[202:203]
	;; [unrolled: 1-line block ×3, first 2 shown]
	v_fma_f64 v[206:207], v[165:166], s[36:37], -v[206:207]
	v_add_f64 v[202:203], v[202:203], v[221:222]
	v_mul_f64 v[221:222], v[167:168], s[36:37]
	v_add_f64 v[204:205], v[204:205], v[225:226]
	v_add_f64 v[208:209], v[208:209], v[229:230]
	;; [unrolled: 1-line block ×3, first 2 shown]
	v_mul_f64 v[227:228], v[171:172], s[12:13]
	v_fma_f64 v[225:226], v[169:170], s[34:35], v[221:222]
	v_fma_f64 v[221:222], v[169:170], s[38:39], v[221:222]
	v_mul_f64 v[171:172], v[171:172], s[28:29]
	v_fma_f64 v[229:230], v[165:166], s[6:7], v[227:228]
	v_fma_f64 v[227:228], v[165:166], s[6:7], -v[227:228]
	v_add_f64 v[221:222], v[221:222], v[231:232]
	v_mul_f64 v[231:232], v[167:168], s[6:7]
	v_mul_f64 v[167:168], v[167:168], s[26:27]
	v_add_f64 v[225:226], v[225:226], v[233:234]
	v_add_f64 v[229:230], v[229:230], v[237:238]
	;; [unrolled: 1-line block ×3, first 2 shown]
	v_fma_f64 v[235:236], v[165:166], s[26:27], v[171:172]
	v_fma_f64 v[165:166], v[165:166], s[26:27], -v[171:172]
	v_add_f64 v[171:172], v[175:176], -v[187:188]
	v_fma_f64 v[233:234], v[169:170], s[4:5], v[231:232]
	v_fma_f64 v[231:232], v[169:170], s[12:13], v[231:232]
	;; [unrolled: 1-line block ×3, first 2 shown]
	v_add_f64 v[235:236], v[235:236], v[243:244]
	v_add_f64 v[161:162], v[165:166], v[161:162]
	v_fma_f64 v[165:166], v[169:170], s[28:29], v[167:168]
	v_add_f64 v[167:168], v[175:176], v[187:188]
	v_add_f64 v[169:170], v[173:174], -v[185:186]
	v_add_f64 v[231:232], v[231:232], v[239:240]
	v_add_f64 v[233:234], v[233:234], v[241:242]
	;; [unrolled: 1-line block ×4, first 2 shown]
	v_add_f64 v[245:246], v[177:178], -v[181:182]
	v_add_f64 v[177:178], v[179:180], -v[183:184]
	v_add_f64 v[243:244], v[179:180], v[183:184]
	v_add_f64 v[163:164], v[165:166], v[163:164]
	;; [unrolled: 1-line block ×3, first 2 shown]
	v_mul_f64 v[173:174], v[171:172], s[4:5]
	v_mul_f64 v[185:186], v[167:168], s[6:7]
	v_fma_f64 v[175:176], v[165:166], s[6:7], v[173:174]
	v_fma_f64 v[173:174], v[165:166], s[6:7], -v[173:174]
	v_fma_f64 v[187:188], v[169:170], s[12:13], v[185:186]
	v_fma_f64 v[185:186], v[169:170], s[4:5], v[185:186]
	v_add_f64 v[175:176], v[175:176], v[191:192]
	v_add_f64 v[173:174], v[173:174], v[189:190]
	v_mul_f64 v[189:190], v[171:172], s[38:39]
	v_add_f64 v[185:186], v[185:186], v[194:195]
	v_mul_f64 v[194:195], v[167:168], s[36:37]
	v_add_f64 v[187:188], v[187:188], v[198:199]
	v_fma_f64 v[191:192], v[165:166], s[36:37], v[189:190]
	v_fma_f64 v[189:190], v[165:166], s[36:37], -v[189:190]
	v_fma_f64 v[198:199], v[169:170], s[34:35], v[194:195]
	v_fma_f64 v[194:195], v[169:170], s[38:39], v[194:195]
	v_add_f64 v[191:192], v[191:192], v[200:201]
	v_add_f64 v[189:190], v[189:190], v[196:197]
	v_mul_f64 v[196:197], v[171:172], s[16:17]
	v_add_f64 v[204:205], v[198:199], v[204:205]
	v_add_f64 v[194:195], v[194:195], v[202:203]
	v_fma_f64 v[198:199], v[165:166], s[14:15], v[196:197]
	v_fma_f64 v[196:197], v[165:166], s[14:15], -v[196:197]
	v_add_f64 v[202:203], v[198:199], v[208:209]
	v_mul_f64 v[198:199], v[167:168], s[14:15]
	v_add_f64 v[206:207], v[196:197], v[206:207]
	v_fma_f64 v[196:197], v[169:170], s[16:17], v[198:199]
	v_fma_f64 v[200:201], v[169:170], s[18:19], v[198:199]
	v_add_f64 v[221:222], v[196:197], v[221:222]
	v_mul_f64 v[196:197], v[171:172], s[24:25]
	v_add_f64 v[208:209], v[200:201], v[225:226]
	v_mul_f64 v[171:172], v[171:172], s[20:21]
	v_fma_f64 v[198:199], v[165:166], s[26:27], v[196:197]
	v_fma_f64 v[196:197], v[165:166], s[26:27], -v[196:197]
	v_add_f64 v[225:226], v[198:199], v[229:230]
	v_mul_f64 v[198:199], v[167:168], s[26:27]
	v_add_f64 v[227:228], v[196:197], v[227:228]
	v_mul_f64 v[167:168], v[167:168], s[22:23]
	v_fma_f64 v[196:197], v[169:170], s[24:25], v[198:199]
	v_fma_f64 v[200:201], v[169:170], s[28:29], v[198:199]
	v_add_f64 v[231:232], v[196:197], v[231:232]
	v_fma_f64 v[196:197], v[165:166], s[22:23], v[171:172]
	v_add_f64 v[229:230], v[200:201], v[233:234]
	v_fma_f64 v[165:166], v[165:166], s[22:23], -v[171:172]
	v_add_f64 v[233:234], v[196:197], v[235:236]
	v_fma_f64 v[196:197], v[169:170], s[30:31], v[167:168]
	v_add_f64 v[235:236], v[196:197], v[237:238]
	v_add_f64 v[237:238], v[165:166], v[161:162]
	v_fma_f64 v[161:162], v[169:170], s[20:21], v[167:168]
	v_mul_f64 v[169:170], v[243:244], s[6:7]
	v_add_f64 v[239:240], v[161:162], v[163:164]
	v_mul_f64 v[161:162], v[177:178], s[20:21]
	v_fma_f64 v[163:164], v[241:242], s[22:23], v[161:162]
	v_fma_f64 v[161:162], v[241:242], s[22:23], -v[161:162]
	v_add_f64 v[200:201], v[163:164], v[175:176]
	v_mul_f64 v[163:164], v[243:244], s[22:23]
	v_add_f64 v[196:197], v[161:162], v[173:174]
	v_mul_f64 v[173:174], v[177:178], s[24:25]
	v_mul_f64 v[175:176], v[243:244], s[26:27]
	v_fma_f64 v[165:166], v[245:246], s[30:31], v[163:164]
	v_fma_f64 v[161:162], v[245:246], s[20:21], v[163:164]
	v_mul_f64 v[163:164], v[177:178], s[12:13]
	v_fma_f64 v[171:172], v[245:246], s[28:29], v[175:176]
	v_add_f64 v[198:199], v[165:166], v[187:188]
	v_add_f64 v[167:168], v[161:162], v[185:186]
	v_fma_f64 v[161:162], v[241:242], s[6:7], v[163:164]
	v_fma_f64 v[163:164], v[241:242], s[6:7], -v[163:164]
	v_add_f64 v[171:172], v[171:172], v[208:209]
	v_add_f64 v[208:209], v[155:156], -v[159:160]
	v_add_f64 v[165:166], v[161:162], v[191:192]
	v_fma_f64 v[161:162], v[245:246], s[4:5], v[169:170]
	v_fma_f64 v[169:170], v[245:246], s[12:13], v[169:170]
	v_add_f64 v[163:164], v[163:164], v[189:190]
	v_add_f64 v[161:162], v[161:162], v[204:205]
	;; [unrolled: 1-line block ×3, first 2 shown]
	v_fma_f64 v[169:170], v[241:242], s[26:27], v[173:174]
	v_fma_f64 v[173:174], v[241:242], s[26:27], -v[173:174]
	v_add_f64 v[204:205], v[153:154], v[157:158]
	v_add_f64 v[169:170], v[169:170], v[202:203]
	;; [unrolled: 1-line block ×3, first 2 shown]
	v_fma_f64 v[173:174], v[245:246], s[24:25], v[175:176]
	v_mul_f64 v[202:203], v[243:244], s[14:15]
	v_add_f64 v[206:207], v[155:156], v[159:160]
	v_add_f64 v[189:190], v[173:174], v[221:222]
	v_mul_f64 v[173:174], v[177:178], s[34:35]
	v_fma_f64 v[175:176], v[241:242], s[36:37], v[173:174]
	v_fma_f64 v[173:174], v[241:242], s[36:37], -v[173:174]
	v_add_f64 v[187:188], v[175:176], v[225:226]
	v_mul_f64 v[175:176], v[243:244], s[36:37]
	v_add_f64 v[183:184], v[173:174], v[227:228]
	v_fma_f64 v[173:174], v[245:246], s[34:35], v[175:176]
	v_fma_f64 v[179:180], v[245:246], s[38:39], v[175:176]
	v_add_f64 v[181:182], v[173:174], v[231:232]
	v_mul_f64 v[173:174], v[177:178], s[16:17]
	v_add_f64 v[185:186], v[179:180], v[229:230]
	v_fma_f64 v[175:176], v[241:242], s[14:15], v[173:174]
	v_fma_f64 v[173:174], v[241:242], s[14:15], -v[173:174]
	v_add_f64 v[179:180], v[175:176], v[233:234]
	v_fma_f64 v[175:176], v[245:246], s[18:19], v[202:203]
	v_add_f64 v[177:178], v[175:176], v[235:236]
	v_add_f64 v[175:176], v[173:174], v[237:238]
	v_fma_f64 v[173:174], v[245:246], s[16:17], v[202:203]
	v_add_f64 v[202:203], v[153:154], -v[157:158]
	v_mul_f64 v[153:154], v[208:209], s[34:35]
	v_add_f64 v[173:174], v[173:174], v[239:240]
	v_fma_f64 v[155:156], v[204:205], s[36:37], v[153:154]
	v_fma_f64 v[153:154], v[204:205], s[36:37], -v[153:154]
	v_add_f64 v[157:158], v[155:156], v[200:201]
	v_mul_f64 v[155:156], v[206:207], s[36:37]
	v_add_f64 v[153:154], v[153:154], v[196:197]
	v_mul_f64 v[196:197], v[208:209], s[28:29]
	v_fma_f64 v[159:160], v[202:203], s[38:39], v[155:156]
	v_fma_f64 v[155:156], v[202:203], s[34:35], v[155:156]
	v_add_f64 v[159:160], v[159:160], v[198:199]
	v_add_f64 v[155:156], v[155:156], v[167:168]
	v_fma_f64 v[167:168], v[204:205], s[26:27], v[196:197]
	v_mul_f64 v[198:199], v[206:207], s[26:27]
	v_add_f64 v[165:166], v[167:168], v[165:166]
	v_fma_f64 v[167:168], v[202:203], s[24:25], v[198:199]
	v_add_f64 v[167:168], v[167:168], v[161:162]
	v_fma_f64 v[161:162], v[204:205], s[26:27], -v[196:197]
	v_add_f64 v[161:162], v[161:162], v[163:164]
	v_fma_f64 v[163:164], v[202:203], s[28:29], v[198:199]
	v_add_f64 v[163:164], v[163:164], v[194:195]
	v_mul_f64 v[194:195], v[208:209], s[20:21]
	v_fma_f64 v[196:197], v[204:205], s[22:23], v[194:195]
	v_fma_f64 v[194:195], v[204:205], s[22:23], -v[194:195]
	v_add_f64 v[169:170], v[196:197], v[169:170]
	v_mul_f64 v[196:197], v[206:207], s[22:23]
	v_add_f64 v[194:195], v[194:195], v[191:192]
	v_fma_f64 v[191:192], v[202:203], s[20:21], v[196:197]
	v_fma_f64 v[198:199], v[202:203], s[30:31], v[196:197]
	v_add_f64 v[196:197], v[191:192], v[189:190]
	v_mul_f64 v[191:192], v[208:209], s[16:17]
	v_add_f64 v[171:172], v[198:199], v[171:172]
	v_mul_f64 v[198:199], v[206:207], s[14:15]
	v_fma_f64 v[189:190], v[204:205], s[14:15], v[191:192]
	v_add_f64 v[187:188], v[189:190], v[187:188]
	v_fma_f64 v[189:190], v[202:203], s[18:19], v[198:199]
	v_add_f64 v[189:190], v[189:190], v[185:186]
	v_fma_f64 v[185:186], v[204:205], s[14:15], -v[191:192]
	v_mul_f64 v[191:192], v[208:209], s[4:5]
	v_add_f64 v[183:184], v[185:186], v[183:184]
	v_fma_f64 v[185:186], v[202:203], s[16:17], v[198:199]
	v_mul_f64 v[198:199], v[206:207], s[6:7]
	v_add_f64 v[185:186], v[185:186], v[181:182]
	v_fma_f64 v[181:182], v[204:205], s[6:7], v[191:192]
	v_add_f64 v[179:180], v[181:182], v[179:180]
	v_fma_f64 v[181:182], v[202:203], s[12:13], v[198:199]
	v_add_f64 v[181:182], v[181:182], v[177:178]
	v_fma_f64 v[177:178], v[204:205], s[6:7], -v[191:192]
	v_add_f64 v[175:176], v[177:178], v[175:176]
	v_fma_f64 v[177:178], v[202:203], s[4:5], v[198:199]
	v_add_f64 v[177:178], v[177:178], v[173:174]
	ds_write_b128 v212, v[149:152]
	ds_write_b128 v212, v[157:160] offset:16
	ds_write_b128 v212, v[165:168] offset:32
	;; [unrolled: 1-line block ×10, first 2 shown]
	s_waitcnt lgkmcnt(0)
	s_barrier
	buffer_gl0_inv
	ds_read_b128 v[157:160], v211
	ds_read_b128 v[149:152], v0 offset:2816
	ds_read_b128 v[165:168], v0 offset:512
	;; [unrolled: 1-line block ×9, first 2 shown]
	s_and_saveexec_b32 s1, vcc_lo
	s_cbranch_execz .LBB0_11
; %bb.10:
	ds_read_b128 v[153:156], v220 offset:2560
	ds_read_b128 v[145:148], v0 offset:5376
.LBB0_11:
	s_or_b32 exec_lo, exec_lo, s1
	s_waitcnt lgkmcnt(8)
	v_mul_f64 v[194:195], v[71:72], v[151:152]
	v_mul_f64 v[71:72], v[71:72], v[149:150]
	s_waitcnt lgkmcnt(6)
	v_mul_f64 v[196:197], v[75:76], v[163:164]
	v_mul_f64 v[75:76], v[75:76], v[161:162]
	;; [unrolled: 3-line block ×5, first 2 shown]
	v_mul_f64 v[204:205], v[63:64], v[147:148]
	v_mul_f64 v[63:64], v[63:64], v[145:146]
	s_barrier
	buffer_gl0_inv
	v_fma_f64 v[149:150], v[69:70], v[149:150], v[194:195]
	v_fma_f64 v[69:70], v[69:70], v[151:152], -v[71:72]
	v_fma_f64 v[71:72], v[73:74], v[161:162], v[196:197]
	v_fma_f64 v[73:74], v[73:74], v[163:164], -v[75:76]
	;; [unrolled: 2-line block ×6, first 2 shown]
	v_add_f64 v[65:66], v[157:158], -v[149:150]
	v_add_f64 v[67:68], v[159:160], -v[69:70]
	;; [unrolled: 1-line block ×12, first 2 shown]
	v_fma_f64 v[61:62], v[157:158], 2.0, -v[65:66]
	v_fma_f64 v[63:64], v[159:160], 2.0, -v[67:68]
	;; [unrolled: 1-line block ×12, first 2 shown]
	ds_write_b128 v219, v[65:68] offset:176
	ds_write_b128 v219, v[61:64]
	ds_write_b128 v218, v[77:80]
	ds_write_b128 v218, v[69:72] offset:176
	ds_write_b128 v217, v[81:84]
	ds_write_b128 v217, v[73:76] offset:176
	;; [unrolled: 2-line block ×4, first 2 shown]
	s_and_saveexec_b32 s1, vcc_lo
	s_cbranch_execz .LBB0_13
; %bb.12:
	v_mov_b32_e32 v169, 22
	v_mul_u32_u24_sdwa v169, v213, v169 dst_sel:DWORD dst_unused:UNUSED_PAD src0_sel:WORD_0 src1_sel:DWORD
	v_add_nc_u32_sdwa v169, v169, v214 dst_sel:DWORD dst_unused:UNUSED_PAD src0_sel:DWORD src1_sel:BYTE_0
	v_lshl_add_u32 v169, v169, 4, v224
	ds_write_b128 v169, v[153:156]
	ds_write_b128 v169, v[161:164] offset:176
.LBB0_13:
	s_or_b32 exec_lo, exec_lo, s1
	s_waitcnt lgkmcnt(0)
	s_barrier
	buffer_gl0_inv
	s_and_saveexec_b32 s1, s0
	s_cbranch_execz .LBB0_15
; %bb.14:
	ds_read_b128 v[61:64], v211
	ds_read_b128 v[65:68], v0 offset:352
	ds_read_b128 v[77:80], v0 offset:704
	;; [unrolled: 1-line block ×15, first 2 shown]
.LBB0_15:
	s_or_b32 exec_lo, exec_lo, s1
	s_and_saveexec_b32 s6, s0
	s_cbranch_execz .LBB0_17
; %bb.16:
	s_waitcnt lgkmcnt(13)
	v_mul_f64 v[169:170], v[59:60], v[77:78]
	s_waitcnt lgkmcnt(5)
	v_mul_f64 v[171:172], v[115:116], v[153:154]
	v_mul_f64 v[173:174], v[103:104], v[167:168]
	s_waitcnt lgkmcnt(1)
	v_mul_f64 v[175:176], v[127:128], v[143:144]
	v_mul_f64 v[177:178], v[91:92], v[157:158]
	;; [unrolled: 1-line block ×11, first 2 shown]
	s_waitcnt lgkmcnt(0)
	v_mul_f64 v[189:190], v[123:124], v[131:132]
	v_mul_f64 v[95:96], v[95:96], v[145:146]
	v_mul_f64 v[123:124], v[123:124], v[129:130]
	v_mul_f64 v[55:56], v[55:56], v[71:72]
	v_mul_f64 v[111:112], v[111:112], v[163:164]
	v_mul_f64 v[51:52], v[51:52], v[81:82]
	v_mul_f64 v[91:92], v[91:92], v[159:160]
	s_mov_b32 s0, 0x667f3bcd
	v_fma_f64 v[79:80], v[57:58], v[79:80], -v[169:170]
	v_fma_f64 v[155:156], v[113:114], v[155:156], -v[171:172]
	v_fma_f64 v[165:166], v[101:102], v[165:166], v[173:174]
	v_fma_f64 v[141:142], v[125:126], v[141:142], v[175:176]
	v_fma_f64 v[169:170], v[89:90], v[159:160], -v[177:178]
	v_fma_f64 v[171:172], v[49:50], v[81:82], v[179:180]
	v_fma_f64 v[101:102], v[101:102], v[167:168], -v[103:104]
	v_mul_f64 v[103:104], v[47:48], v[65:66]
	v_mul_f64 v[167:168], v[99:100], v[149:150]
	;; [unrolled: 1-line block ×9, first 2 shown]
	v_fma_f64 v[173:174], v[105:106], v[133:134], v[181:182]
	v_fma_f64 v[107:108], v[125:126], v[143:144], -v[127:128]
	v_fma_f64 v[57:58], v[57:58], v[77:78], v[59:60]
	v_fma_f64 v[59:60], v[113:114], v[153:154], v[115:116]
	v_fma_f64 v[71:72], v[53:54], v[71:72], -v[183:184]
	v_fma_f64 v[77:78], v[109:110], v[163:164], -v[185:186]
	v_fma_f64 v[113:114], v[93:94], v[145:146], v[187:188]
	v_fma_f64 v[115:116], v[121:122], v[129:130], v[189:190]
	v_fma_f64 v[93:94], v[93:94], v[147:148], -v[95:96]
	;; [unrolled: 4-line block ×3, first 2 shown]
	v_fma_f64 v[67:68], v[45:46], v[67:68], -v[103:104]
	v_fma_f64 v[103:104], v[97:98], v[151:152], -v[167:168]
	v_fma_f64 v[73:74], v[85:86], v[73:74], v[175:176]
	v_fma_f64 v[125:126], v[117:118], v[137:138], v[177:178]
	v_fma_f64 v[69:70], v[85:86], v[75:76], -v[87:88]
	v_fma_f64 v[75:76], v[117:118], v[139:140], -v[119:120]
	v_fma_f64 v[45:46], v[45:46], v[65:66], v[47:48]
	v_fma_f64 v[47:48], v[97:98], v[149:150], v[99:100]
	v_fma_f64 v[51:52], v[105:106], v[135:136], -v[81:82]
	v_fma_f64 v[65:66], v[89:90], v[157:158], v[91:92]
	v_add_f64 v[81:82], v[79:80], -v[155:156]
	v_add_f64 v[83:84], v[165:166], -v[141:142]
	;; [unrolled: 1-line block ×9, first 2 shown]
	s_mov_b32 s1, 0x3fe6a09e
	v_add_f64 v[55:56], v[53:54], -v[55:56]
	s_mov_b32 s5, 0xbfe6a09e
	s_mov_b32 s4, s0
	v_add_f64 v[97:98], v[67:68], -v[103:104]
	s_mov_b32 s12, 0xcf328d46
	v_add_f64 v[99:100], v[73:74], -v[125:126]
	;; [unrolled: 2-line block ×4, first 2 shown]
	v_add_f64 v[51:52], v[49:50], -v[51:52]
	v_add_f64 v[65:66], v[61:62], -v[65:66]
	v_fma_f64 v[79:80], v[79:80], 2.0, -v[81:82]
	v_add_f64 v[103:104], v[81:82], -v[83:84]
	v_fma_f64 v[63:64], v[63:64], 2.0, -v[85:86]
	v_add_f64 v[105:106], v[85:86], -v[87:88]
	s_mov_b32 s15, 0xbfd87de2
	v_add_f64 v[107:108], v[89:90], v[59:60]
	v_fma_f64 v[71:72], v[71:72], 2.0, -v[77:78]
	v_add_f64 v[109:110], v[77:78], -v[91:92]
	s_mov_b32 s17, 0x3fd87de2
	s_mov_b32 s16, s14
	v_add_f64 v[115:116], v[95:96], v[55:56]
	v_fma_f64 v[53:54], v[53:54], 2.0, -v[55:56]
	s_mov_b32 s19, 0xbfed906b
	v_fma_f64 v[67:68], v[67:68], 2.0, -v[97:98]
	s_mov_b32 s18, s12
	v_add_f64 v[111:112], v[97:98], -v[99:100]
	v_fma_f64 v[73:74], v[73:74], 2.0, -v[99:100]
	v_fma_f64 v[69:70], v[69:70], 2.0, -v[75:76]
	v_add_f64 v[117:118], v[75:76], v[47:48]
	v_fma_f64 v[49:50], v[49:50], 2.0, -v[51:52]
	v_add_f64 v[119:120], v[65:66], v[51:52]
	v_fma_f64 v[51:52], v[57:58], 2.0, -v[59:60]
	v_fma_f64 v[57:58], v[165:166], 2.0, -v[83:84]
	;; [unrolled: 1-line block ×8, first 2 shown]
	v_fma_f64 v[91:92], v[103:104], s[0:1], v[105:106]
	v_fma_f64 v[85:86], v[85:86], 2.0, -v[105:106]
	v_fma_f64 v[81:82], v[81:82], 2.0, -v[103:104]
	v_fma_f64 v[59:60], v[59:60], 2.0, -v[107:108]
	v_fma_f64 v[77:78], v[77:78], 2.0, -v[109:110]
	v_fma_f64 v[55:56], v[55:56], 2.0, -v[115:116]
	v_fma_f64 v[93:94], v[109:110], s[0:1], v[111:112]
	v_fma_f64 v[95:96], v[97:98], 2.0, -v[111:112]
	v_add_f64 v[69:70], v[67:68], -v[69:70]
	v_fma_f64 v[47:48], v[47:48], 2.0, -v[117:118]
	v_add_f64 v[49:50], v[63:64], -v[49:50]
	v_fma_f64 v[65:66], v[65:66], 2.0, -v[119:120]
	v_fma_f64 v[97:98], v[115:116], s[0:1], v[117:118]
	v_add_f64 v[57:58], v[51:52], -v[57:58]
	v_add_f64 v[73:74], v[45:46], -v[73:74]
	;; [unrolled: 1-line block ×4, first 2 shown]
	v_fma_f64 v[99:100], v[107:108], s[0:1], v[119:120]
	v_add_f64 v[75:76], v[61:62], -v[75:76]
	v_add_f64 v[87:88], v[71:72], -v[87:88]
	v_fma_f64 v[91:92], v[107:108], s[4:5], v[91:92]
	v_fma_f64 v[101:102], v[81:82], s[4:5], v[85:86]
	v_fma_f64 v[93:94], v[115:116], s[4:5], v[93:94]
	v_fma_f64 v[107:108], v[77:78], s[4:5], v[95:96]
	v_fma_f64 v[113:114], v[55:56], s[4:5], v[47:48]
	v_fma_f64 v[63:64], v[63:64], 2.0, -v[49:50]
	v_fma_f64 v[115:116], v[59:60], s[4:5], v[65:66]
	v_add_f64 v[121:122], v[49:50], -v[57:58]
	v_fma_f64 v[45:46], v[45:46], 2.0, -v[73:74]
	v_fma_f64 v[79:80], v[79:80], 2.0, -v[83:84]
	;; [unrolled: 1-line block ×3, first 2 shown]
	v_add_f64 v[89:90], v[69:70], -v[89:90]
	v_fma_f64 v[61:62], v[61:62], 2.0, -v[75:76]
	v_fma_f64 v[51:52], v[51:52], 2.0, -v[57:58]
	;; [unrolled: 1-line block ×4, first 2 shown]
	v_fma_f64 v[71:72], v[109:110], s[0:1], v[97:98]
	v_add_f64 v[87:88], v[87:88], v[73:74]
	v_add_f64 v[109:110], v[75:76], v[83:84]
	v_fma_f64 v[123:124], v[103:104], s[0:1], v[99:100]
	v_fma_f64 v[97:98], v[59:60], s[4:5], v[101:102]
	v_fma_f64 v[99:100], v[105:106], 2.0, -v[91:92]
	v_fma_f64 v[83:84], v[55:56], s[4:5], v[107:108]
	v_fma_f64 v[55:56], v[77:78], s[0:1], v[113:114]
	;; [unrolled: 1-line block ×3, first 2 shown]
	v_fma_f64 v[101:102], v[49:50], 2.0, -v[121:122]
	v_add_f64 v[81:82], v[63:64], -v[79:80]
	v_add_f64 v[53:54], v[45:46], -v[53:54]
	v_fma_f64 v[79:80], v[111:112], 2.0, -v[93:94]
	v_fma_f64 v[49:50], v[69:70], 2.0, -v[89:90]
	v_add_f64 v[105:106], v[61:62], -v[51:52]
	v_fma_f64 v[51:52], v[93:94], s[12:13], v[91:92]
	v_add_f64 v[103:104], v[57:58], -v[67:68]
	v_fma_f64 v[67:68], v[117:118], 2.0, -v[71:72]
	v_fma_f64 v[69:70], v[73:74], 2.0, -v[87:88]
	;; [unrolled: 1-line block ×5, first 2 shown]
	v_fma_f64 v[59:60], v[89:90], s[0:1], v[121:122]
	v_fma_f64 v[73:74], v[95:96], 2.0, -v[83:84]
	v_fma_f64 v[129:130], v[87:88], s[0:1], v[109:110]
	v_fma_f64 v[131:132], v[71:72], s[12:13], v[123:124]
	v_fma_f64 v[75:76], v[47:48], 2.0, -v[55:56]
	v_fma_f64 v[115:116], v[65:66], 2.0, -v[77:78]
	v_fma_f64 v[65:66], v[83:84], s[16:17], v[97:98]
	v_fma_f64 v[127:128], v[55:56], s[16:17], v[77:78]
	v_fma_f64 v[117:118], v[63:64], 2.0, -v[81:82]
	;; [unrolled: 4-line block ×3, first 2 shown]
	v_fma_f64 v[47:48], v[71:72], s[14:15], v[51:52]
	v_fma_f64 v[57:58], v[57:58], 2.0, -v[103:104]
	v_fma_f64 v[61:62], v[69:70], s[4:5], v[107:108]
	v_fma_f64 v[125:126], v[67:68], s[14:15], v[111:112]
	v_fma_f64 v[51:52], v[87:88], s[4:5], v[59:60]
	v_fma_f64 v[133:134], v[73:74], s[18:19], v[113:114]
	v_add_f64 v[59:60], v[81:82], -v[53:54]
	v_fma_f64 v[135:136], v[75:76], s[18:19], v[115:116]
	v_fma_f64 v[55:56], v[55:56], s[18:19], v[65:66]
	;; [unrolled: 1-line block ×5, first 2 shown]
	v_add_f64 v[69:70], v[119:120], -v[45:46]
	v_fma_f64 v[45:46], v[93:94], s[16:17], v[131:132]
	v_add_f64 v[71:72], v[117:118], -v[57:58]
	v_add_f64 v[57:58], v[105:106], v[103:104]
	v_fma_f64 v[65:66], v[49:50], s[0:1], v[61:62]
	v_fma_f64 v[61:62], v[79:80], s[12:13], v[125:126]
	;; [unrolled: 1-line block ×3, first 2 shown]
	v_fma_f64 v[79:80], v[91:92], 2.0, -v[47:48]
	v_fma_f64 v[75:76], v[75:76], s[14:15], v[133:134]
	v_fma_f64 v[91:92], v[81:82], 2.0, -v[59:60]
	v_fma_f64 v[83:84], v[121:122], 2.0, -v[51:52]
	v_fma_f64 v[73:74], v[73:74], s[16:17], v[135:136]
	v_fma_f64 v[87:88], v[97:98], 2.0, -v[55:56]
	v_fma_f64 v[85:86], v[77:78], 2.0, -v[53:54]
	v_fma_f64 v[95:96], v[99:100], 2.0, -v[63:64]
	v_fma_f64 v[99:100], v[101:102], 2.0, -v[67:68]
	v_fma_f64 v[101:102], v[119:120], 2.0, -v[69:70]
	v_fma_f64 v[77:78], v[123:124], 2.0, -v[45:46]
	v_fma_f64 v[103:104], v[117:118], 2.0, -v[71:72]
	v_fma_f64 v[89:90], v[105:106], 2.0, -v[57:58]
	v_fma_f64 v[97:98], v[107:108], 2.0, -v[65:66]
	v_fma_f64 v[93:94], v[111:112], 2.0, -v[61:62]
	v_fma_f64 v[81:82], v[109:110], 2.0, -v[49:50]
	v_fma_f64 v[107:108], v[113:114], 2.0, -v[75:76]
	v_fma_f64 v[105:106], v[115:116], 2.0, -v[73:74]
	ds_write_b128 v211, v[101:104]
	ds_write_b128 v0, v[97:100] offset:704
	ds_write_b128 v0, v[93:96] offset:1056
	;; [unrolled: 1-line block ×15, first 2 shown]
.LBB0_17:
	s_or_b32 exec_lo, exec_lo, s6
	s_waitcnt lgkmcnt(0)
	s_barrier
	buffer_gl0_inv
	ds_read_b128 v[45:48], v211
	ds_read_b128 v[49:52], v0 offset:512
	ds_read_b128 v[53:56], v0 offset:1024
	;; [unrolled: 1-line block ×5, first 2 shown]
	v_mad_u64_u32 v[89:90], null, s10, v193, 0
	v_mad_u64_u32 v[91:92], null, s8, v210, 0
	ds_read_b128 v[69:72], v0 offset:3072
	ds_read_b128 v[73:76], v0 offset:3584
	;; [unrolled: 1-line block ×5, first 2 shown]
	s_mov_b32 s4, 0x745d1746
	s_mov_b32 s5, 0x3f6745d1
	s_lshl_b64 s[0:1], s[8:9], 9
	v_mad_u64_u32 v[99:100], null, s11, v193, v[90:91]
	s_waitcnt lgkmcnt(10)
	v_mul_f64 v[93:94], v[27:28], v[47:48]
	v_mul_f64 v[27:28], v[27:28], v[45:46]
	s_waitcnt lgkmcnt(9)
	v_mul_f64 v[95:96], v[35:36], v[51:52]
	v_mul_f64 v[35:36], v[35:36], v[49:50]
	;; [unrolled: 3-line block ×4, first 2 shown]
	v_mov_b32_e32 v90, v99
	v_mul_f64 v[107:108], v[7:8], v[63:64]
	v_mul_f64 v[7:8], v[7:8], v[61:62]
	v_fma_f64 v[23:24], v[25:26], v[45:46], v[93:94]
	v_fma_f64 v[25:26], v[25:26], v[47:48], -v[27:28]
	v_fma_f64 v[27:28], v[33:34], v[49:50], v[95:96]
	v_fma_f64 v[33:34], v[33:34], v[51:52], -v[35:36]
	v_mad_u64_u32 v[100:101], null, s9, v210, v[92:93]
	v_fma_f64 v[45:46], v[29:30], v[55:56], -v[31:32]
	v_fma_f64 v[35:36], v[29:30], v[53:54], v[97:98]
	v_mul_f64 v[101:102], v[19:20], v[59:60]
	v_mul_f64 v[19:20], v[19:20], v[57:58]
	v_lshlrev_b64 v[29:30], 4, v[89:90]
	s_waitcnt lgkmcnt(4)
	v_mul_f64 v[47:48], v[3:4], v[71:72]
	v_mov_b32_e32 v92, v100
	v_mul_f64 v[3:4], v[3:4], v[69:70]
	s_waitcnt lgkmcnt(3)
	v_mul_f64 v[49:50], v[11:12], v[75:76]
	v_mul_f64 v[11:12], v[11:12], v[73:74]
	v_add_co_u32 v0, vcc_lo, s2, v29
	s_waitcnt lgkmcnt(2)
	v_mul_f64 v[51:52], v[15:16], v[79:80]
	v_mul_f64 v[53:54], v[15:16], v[77:78]
	v_lshlrev_b64 v[15:16], 4, v[91:92]
	v_add_co_ci_u32_e32 v89, vcc_lo, s3, v30, vcc_lo
	v_mul_f64 v[23:24], v[23:24], s[4:5]
	v_mul_f64 v[25:26], v[25:26], s[4:5]
	;; [unrolled: 1-line block ×4, first 2 shown]
	v_add_co_u32 v15, vcc_lo, v0, v15
	v_mul_f64 v[33:34], v[45:46], s[4:5]
	v_fma_f64 v[45:46], v[21:22], v[65:66], v[103:104]
	v_fma_f64 v[21:22], v[21:22], v[67:68], -v[105:106]
	v_mul_f64 v[31:32], v[35:36], s[4:5]
	v_fma_f64 v[55:56], v[17:18], v[57:58], v[101:102]
	v_fma_f64 v[17:18], v[17:18], v[59:60], -v[19:20]
	s_waitcnt lgkmcnt(1)
	v_mul_f64 v[19:20], v[39:40], v[83:84]
	v_mul_f64 v[39:40], v[39:40], v[81:82]
	s_waitcnt lgkmcnt(0)
	v_mul_f64 v[59:60], v[43:44], v[87:88]
	v_mul_f64 v[43:44], v[43:44], v[85:86]
	v_add_co_ci_u32_e32 v16, vcc_lo, v89, v16, vcc_lo
	v_add_co_u32 v35, vcc_lo, v15, s0
	v_add_co_ci_u32_e32 v36, vcc_lo, s1, v16, vcc_lo
	v_add_co_u32 v57, vcc_lo, v35, s0
	v_add_co_ci_u32_e32 v58, vcc_lo, s1, v36, vcc_lo
	global_store_dwordx4 v[15:16], v[23:26], off
	global_store_dwordx4 v[35:36], v[27:30], off
	;; [unrolled: 1-line block ×3, first 2 shown]
	v_fma_f64 v[23:24], v[5:6], v[61:62], v[107:108]
	v_fma_f64 v[6:7], v[5:6], v[63:64], -v[7:8]
	v_fma_f64 v[25:26], v[1:2], v[69:70], v[47:48]
	v_fma_f64 v[27:28], v[1:2], v[71:72], -v[3:4]
	v_mul_f64 v[2:3], v[21:22], s[4:5]
	v_fma_f64 v[21:22], v[9:10], v[73:74], v[49:50]
	v_fma_f64 v[29:30], v[9:10], v[75:76], -v[11:12]
	v_fma_f64 v[31:32], v[13:14], v[77:78], v[51:52]
	v_fma_f64 v[12:13], v[13:14], v[79:80], -v[53:54]
	;; [unrolled: 2-line block ×4, first 2 shown]
	v_add_co_u32 v35, vcc_lo, v57, s0
	v_add_co_ci_u32_e32 v36, vcc_lo, s1, v58, vcc_lo
	v_mul_f64 v[15:16], v[55:56], s[4:5]
	v_mul_f64 v[17:18], v[17:18], s[4:5]
	v_add_co_u32 v43, vcc_lo, v35, s0
	v_add_co_ci_u32_e32 v44, vcc_lo, s1, v36, vcc_lo
	v_mul_f64 v[0:1], v[45:46], s[4:5]
	v_add_co_u32 v45, vcc_lo, v43, s0
	v_add_co_ci_u32_e32 v46, vcc_lo, s1, v44, vcc_lo
	v_mul_f64 v[4:5], v[23:24], s[4:5]
	v_add_co_u32 v47, vcc_lo, v45, s0
	v_mul_f64 v[6:7], v[6:7], s[4:5]
	v_mul_f64 v[8:9], v[25:26], s[4:5]
	;; [unrolled: 1-line block ×3, first 2 shown]
	v_add_co_ci_u32_e32 v48, vcc_lo, s1, v46, vcc_lo
	v_mul_f64 v[19:20], v[21:22], s[4:5]
	v_mul_f64 v[21:22], v[29:30], s[4:5]
	;; [unrolled: 1-line block ×8, first 2 shown]
	v_add_co_u32 v12, vcc_lo, v47, s0
	v_add_co_ci_u32_e32 v13, vcc_lo, s1, v48, vcc_lo
	global_store_dwordx4 v[35:36], v[15:18], off
	v_add_co_u32 v14, vcc_lo, v12, s0
	v_add_co_ci_u32_e32 v15, vcc_lo, s1, v13, vcc_lo
	global_store_dwordx4 v[43:44], v[0:3], off
	;; [unrolled: 3-line block ×4, first 2 shown]
	global_store_dwordx4 v[12:13], v[19:22], off
	global_store_dwordx4 v[14:15], v[23:26], off
	;; [unrolled: 1-line block ×4, first 2 shown]
.LBB0_18:
	s_endpgm
	.section	.rodata,"a",@progbits
	.p2align	6, 0x0
	.amdhsa_kernel bluestein_single_fwd_len352_dim1_dp_op_CI_CI
		.amdhsa_group_segment_fixed_size 11264
		.amdhsa_private_segment_fixed_size 0
		.amdhsa_kernarg_size 104
		.amdhsa_user_sgpr_count 6
		.amdhsa_user_sgpr_private_segment_buffer 1
		.amdhsa_user_sgpr_dispatch_ptr 0
		.amdhsa_user_sgpr_queue_ptr 0
		.amdhsa_user_sgpr_kernarg_segment_ptr 1
		.amdhsa_user_sgpr_dispatch_id 0
		.amdhsa_user_sgpr_flat_scratch_init 0
		.amdhsa_user_sgpr_private_segment_size 0
		.amdhsa_wavefront_size32 1
		.amdhsa_uses_dynamic_stack 0
		.amdhsa_system_sgpr_private_segment_wavefront_offset 0
		.amdhsa_system_sgpr_workgroup_id_x 1
		.amdhsa_system_sgpr_workgroup_id_y 0
		.amdhsa_system_sgpr_workgroup_id_z 0
		.amdhsa_system_sgpr_workgroup_info 0
		.amdhsa_system_vgpr_workitem_id 0
		.amdhsa_next_free_vgpr 249
		.amdhsa_next_free_sgpr 40
		.amdhsa_reserve_vcc 1
		.amdhsa_reserve_flat_scratch 0
		.amdhsa_float_round_mode_32 0
		.amdhsa_float_round_mode_16_64 0
		.amdhsa_float_denorm_mode_32 3
		.amdhsa_float_denorm_mode_16_64 3
		.amdhsa_dx10_clamp 1
		.amdhsa_ieee_mode 1
		.amdhsa_fp16_overflow 0
		.amdhsa_workgroup_processor_mode 1
		.amdhsa_memory_ordered 1
		.amdhsa_forward_progress 0
		.amdhsa_shared_vgpr_count 0
		.amdhsa_exception_fp_ieee_invalid_op 0
		.amdhsa_exception_fp_denorm_src 0
		.amdhsa_exception_fp_ieee_div_zero 0
		.amdhsa_exception_fp_ieee_overflow 0
		.amdhsa_exception_fp_ieee_underflow 0
		.amdhsa_exception_fp_ieee_inexact 0
		.amdhsa_exception_int_div_zero 0
	.end_amdhsa_kernel
	.text
.Lfunc_end0:
	.size	bluestein_single_fwd_len352_dim1_dp_op_CI_CI, .Lfunc_end0-bluestein_single_fwd_len352_dim1_dp_op_CI_CI
                                        ; -- End function
	.section	.AMDGPU.csdata,"",@progbits
; Kernel info:
; codeLenInByte = 14508
; NumSgprs: 42
; NumVgprs: 249
; ScratchSize: 0
; MemoryBound: 0
; FloatMode: 240
; IeeeMode: 1
; LDSByteSize: 11264 bytes/workgroup (compile time only)
; SGPRBlocks: 5
; VGPRBlocks: 31
; NumSGPRsForWavesPerEU: 42
; NumVGPRsForWavesPerEU: 249
; Occupancy: 4
; WaveLimiterHint : 1
; COMPUTE_PGM_RSRC2:SCRATCH_EN: 0
; COMPUTE_PGM_RSRC2:USER_SGPR: 6
; COMPUTE_PGM_RSRC2:TRAP_HANDLER: 0
; COMPUTE_PGM_RSRC2:TGID_X_EN: 1
; COMPUTE_PGM_RSRC2:TGID_Y_EN: 0
; COMPUTE_PGM_RSRC2:TGID_Z_EN: 0
; COMPUTE_PGM_RSRC2:TIDIG_COMP_CNT: 0
	.text
	.p2alignl 6, 3214868480
	.fill 48, 4, 3214868480
	.type	__hip_cuid_73572b6de2b2c502,@object ; @__hip_cuid_73572b6de2b2c502
	.section	.bss,"aw",@nobits
	.globl	__hip_cuid_73572b6de2b2c502
__hip_cuid_73572b6de2b2c502:
	.byte	0                               ; 0x0
	.size	__hip_cuid_73572b6de2b2c502, 1

	.ident	"AMD clang version 19.0.0git (https://github.com/RadeonOpenCompute/llvm-project roc-6.4.0 25133 c7fe45cf4b819c5991fe208aaa96edf142730f1d)"
	.section	".note.GNU-stack","",@progbits
	.addrsig
	.addrsig_sym __hip_cuid_73572b6de2b2c502
	.amdgpu_metadata
---
amdhsa.kernels:
  - .args:
      - .actual_access:  read_only
        .address_space:  global
        .offset:         0
        .size:           8
        .value_kind:     global_buffer
      - .actual_access:  read_only
        .address_space:  global
        .offset:         8
        .size:           8
        .value_kind:     global_buffer
      - .actual_access:  read_only
        .address_space:  global
        .offset:         16
        .size:           8
        .value_kind:     global_buffer
      - .actual_access:  read_only
        .address_space:  global
        .offset:         24
        .size:           8
        .value_kind:     global_buffer
      - .actual_access:  read_only
        .address_space:  global
        .offset:         32
        .size:           8
        .value_kind:     global_buffer
      - .offset:         40
        .size:           8
        .value_kind:     by_value
      - .address_space:  global
        .offset:         48
        .size:           8
        .value_kind:     global_buffer
      - .address_space:  global
        .offset:         56
        .size:           8
        .value_kind:     global_buffer
      - .address_space:  global
        .offset:         64
        .size:           8
        .value_kind:     global_buffer
      - .address_space:  global
        .offset:         72
        .size:           8
        .value_kind:     global_buffer
      - .offset:         80
        .size:           4
        .value_kind:     by_value
      - .address_space:  global
        .offset:         88
        .size:           8
        .value_kind:     global_buffer
      - .address_space:  global
        .offset:         96
        .size:           8
        .value_kind:     global_buffer
    .group_segment_fixed_size: 11264
    .kernarg_segment_align: 8
    .kernarg_segment_size: 104
    .language:       OpenCL C
    .language_version:
      - 2
      - 0
    .max_flat_workgroup_size: 64
    .name:           bluestein_single_fwd_len352_dim1_dp_op_CI_CI
    .private_segment_fixed_size: 0
    .sgpr_count:     42
    .sgpr_spill_count: 0
    .symbol:         bluestein_single_fwd_len352_dim1_dp_op_CI_CI.kd
    .uniform_work_group_size: 1
    .uses_dynamic_stack: false
    .vgpr_count:     249
    .vgpr_spill_count: 0
    .wavefront_size: 32
    .workgroup_processor_mode: 1
amdhsa.target:   amdgcn-amd-amdhsa--gfx1030
amdhsa.version:
  - 1
  - 2
...

	.end_amdgpu_metadata
